;; amdgpu-corpus repo=ROCm/rccl kind=compiled arch=gfx906 opt=O3
	.amdgcn_target "amdgcn-amd-amdhsa--gfx906"
	.amdhsa_code_object_version 6
	.text
	.p2align	2                               ; -- Begin function _ZN12_GLOBAL__N_17runRingIj13FuncPreMulSumIjE7ProtoLLLi0ELi1ELi0EEEviiP15ncclDevWorkColl
	.type	_ZN12_GLOBAL__N_17runRingIj13FuncPreMulSumIjE7ProtoLLLi0ELi1ELi0EEEviiP15ncclDevWorkColl,@function
_ZN12_GLOBAL__N_17runRingIj13FuncPreMulSumIjE7ProtoLLLi0ELi1ELi0EEEviiP15ncclDevWorkColl: ; @_ZN12_GLOBAL__N_17runRingIj13FuncPreMulSumIjE7ProtoLLLi0ELi1ELi0EEEviiP15ncclDevWorkColl
; %bb.0:
	s_waitcnt vmcnt(0) expcnt(0) lgkmcnt(0)
	buffer_store_dword v40, off, s[0:3], s32 offset:60 ; 4-byte Folded Spill
	buffer_store_dword v41, off, s[0:3], s32 offset:56 ; 4-byte Folded Spill
	;; [unrolled: 1-line block ×15, first 2 shown]
	buffer_store_dword v63, off, s[0:3], s32 ; 4-byte Folded Spill
	s_trap 2
	flat_load_dword v7, v[2:3]
	flat_load_dwordx4 v[10:13], v[2:3] offset:72
	flat_load_dwordx2 v[19:20], v[2:3] offset:88
	v_mov_b32_e32 v4, v0
	ds_read_b32 v5, v0
                                        ; implicit-def: $vgpr17_vgpr18
	s_waitcnt lgkmcnt(0)
	v_readfirstlane_b32 s22, v5
	s_waitcnt vmcnt(0)
	v_not_b32_sdwa v6, v7 dst_sel:DWORD dst_unused:UNUSED_PAD src0_sel:BYTE_0
	v_add_u32_sdwa v0, v7, v6 dst_sel:DWORD dst_unused:UNUSED_PAD src0_sel:BYTE_1 src1_sel:DWORD
	v_mul_lo_u32 v9, v13, v0
	v_mad_u64_u32 v[29:30], s[4:5], v12, v0, 0
	buffer_store_dword v10, off, s[0:3], s32 offset:88 ; 4-byte Folded Spill
	s_nop 0
	buffer_store_dword v11, off, s[0:3], s32 offset:92 ; 4-byte Folded Spill
	buffer_store_dword v12, off, s[0:3], s32 offset:96 ; 4-byte Folded Spill
	;; [unrolled: 1-line block ×3, first 2 shown]
	v_ashrrev_i32_e32 v8, 31, v0
	v_cmp_ne_u32_sdwa s[4:5], v5, v7 src0_sel:DWORD src1_sel:BYTE_0
	v_mul_lo_u32 v0, v12, v8
	ds_read_b64 v[23:24], v0
	v_add3_u32 v0, v30, v0, v9
                                        ; implicit-def: $vgpr8_vgpr9
                                        ; kill: killed $vgpr8_vgpr9
	s_and_saveexec_b64 s[6:7], s[4:5]
	s_xor_b64 s[4:5], exec, s[6:7]
	s_cbranch_execz .LBB0_6
; %bb.1:
	v_cmp_ne_u32_sdwa s[6:7], v5, v7 src0_sel:DWORD src1_sel:BYTE_1
                                        ; implicit-def: $vgpr17_vgpr18
                                        ; implicit-def: $vgpr7_vgpr8
                                        ; kill: killed $vgpr7_vgpr8
	s_and_saveexec_b64 s[10:11], s[6:7]
	s_xor_b64 s[6:7], exec, s[10:11]
	s_cbranch_execz .LBB0_3
; %bb.2:
	flat_load_dwordx2 v[7:8], v[2:3] offset:96
	buffer_load_dword v10, off, s[0:3], s32 offset:88 ; 4-byte Folded Reload
	buffer_load_dword v11, off, s[0:3], s32 offset:92 ; 4-byte Folded Reload
	buffer_load_dword v12, off, s[0:3], s32 offset:96 ; 4-byte Folded Reload
	buffer_load_dword v13, off, s[0:3], s32 offset:100 ; 4-byte Folded Reload
	v_add_u32_e32 v5, v5, v6
	v_ashrrev_i32_e32 v6, 31, v5
	s_waitcnt vmcnt(0)
	v_mul_lo_u32 v6, v12, v6
	v_mul_lo_u32 v9, v13, v5
	v_mad_u64_u32 v[10:11], s[10:11], v12, v5, v[10:11]
	s_waitcnt lgkmcnt(0)
	v_lshrrev_b64 v[17:18], 19, v[7:8]
	v_add3_u32 v11, v9, v11, v6
	buffer_store_dword v10, off, s[0:3], s32 offset:104 ; 4-byte Folded Spill
	s_nop 0
	buffer_store_dword v11, off, s[0:3], s32 offset:108 ; 4-byte Folded Spill
.LBB0_3:
	s_andn2_saveexec_b64 s[6:7], s[6:7]
	s_cbranch_execz .LBB0_5
; %bb.4:
	flat_load_dword v5, v[2:3] offset:100
	buffer_load_dword v6, off, s[0:3], s32 offset:88 ; 4-byte Folded Reload
	buffer_load_dword v7, off, s[0:3], s32 offset:92 ; 4-byte Folded Reload
	;; [unrolled: 1-line block ×4, first 2 shown]
	s_waitcnt vmcnt(0)
	v_add_co_u32_e32 v8, vcc, v29, v6
	v_addc_co_u32_e32 v9, vcc, v0, v7, vcc
	buffer_store_dword v8, off, s[0:3], s32 offset:104 ; 4-byte Folded Spill
	s_nop 0
	buffer_store_dword v9, off, s[0:3], s32 offset:108 ; 4-byte Folded Spill
	v_mov_b32_e32 v8, v19
	s_waitcnt lgkmcnt(0)
	v_lshrrev_b32_e32 v17, 8, v5
	v_mov_b32_e32 v9, v20
	buffer_store_dword v6, off, s[0:3], s32 offset:88 ; 4-byte Folded Spill
	s_nop 0
	buffer_store_dword v7, off, s[0:3], s32 offset:92 ; 4-byte Folded Spill
	buffer_store_dword v8, off, s[0:3], s32 offset:96 ; 4-byte Folded Spill
	;; [unrolled: 1-line block ×3, first 2 shown]
.LBB0_5:
	s_or_b64 exec, exec, s[6:7]
.LBB0_6:
	s_andn2_saveexec_b64 s[4:5], s[4:5]
	s_cbranch_execz .LBB0_8
; %bb.7:
	flat_load_dwordx2 v[5:6], v[2:3] offset:96
	s_waitcnt vmcnt(0) lgkmcnt(0)
	v_lshlrev_b64 v[17:18], 2, v[5:6]
	v_mov_b32_e32 v5, 0
	v_mov_b32_e32 v6, 0
	buffer_store_dword v5, off, s[0:3], s32 offset:104 ; 4-byte Folded Spill
	s_nop 0
	buffer_store_dword v6, off, s[0:3], s32 offset:108 ; 4-byte Folded Spill
	buffer_load_dword v5, off, s[0:3], s32 offset:88 ; 4-byte Folded Reload
	s_nop 0
	buffer_load_dword v6, off, s[0:3], s32 offset:92 ; 4-byte Folded Reload
	buffer_load_dword v7, off, s[0:3], s32 offset:96 ; 4-byte Folded Reload
	;; [unrolled: 1-line block ×3, first 2 shown]
	s_waitcnt vmcnt(0)
	v_mov_b32_e32 v8, v6
	v_mov_b32_e32 v7, v5
	buffer_store_dword v5, off, s[0:3], s32 offset:88 ; 4-byte Folded Spill
	s_nop 0
	buffer_store_dword v6, off, s[0:3], s32 offset:92 ; 4-byte Folded Spill
	buffer_store_dword v7, off, s[0:3], s32 offset:96 ; 4-byte Folded Spill
	;; [unrolled: 1-line block ×3, first 2 shown]
.LBB0_8:
	s_or_b64 exec, exec, s[4:5]
	flat_load_dwordx2 v[27:28], v[2:3] offset:104
	flat_load_ushort v6, v[2:3] offset:8
	flat_load_dword v5, v[2:3] offset:4
	flat_load_dwordx4 v[7:10], v[2:3] offset:16
	s_load_dword s4, s[8:9], 0x0
	v_mov_b32_e32 v3, 0
	s_mov_b32 s6, 0
	s_waitcnt vmcnt(0) lgkmcnt(0)
	buffer_store_dword v7, off, s[0:3], s32 offset:144 ; 4-byte Folded Spill
	s_nop 0
	buffer_store_dword v8, off, s[0:3], s32 offset:148 ; 4-byte Folded Spill
	buffer_store_dword v9, off, s[0:3], s32 offset:152 ; 4-byte Folded Spill
	;; [unrolled: 1-line block ×3, first 2 shown]
	s_cmp_lt_u32 s12, s4
	s_cselect_b32 s4, 12, 18
	s_add_u32 s4, s8, s4
	s_addc_u32 s5, s9, 0
	global_load_ushort v11, v3, s[4:5]
	s_trap 2
	ds_read_b32 v2, v0
	v_lshrrev_b64 v[5:6], 31, v[5:6]
	v_mov_b32_e32 v9, 0
	v_and_b32_e32 v6, 3, v5
	v_and_b32_e32 v5, 63, v4
	s_waitcnt lgkmcnt(0)
	v_cmp_gt_i32_e32 vcc, 0, v2
	v_readfirstlane_b32 s8, v2
	v_mov_b32_e32 v10, 0
	v_cmp_eq_u32_e64 s[4:5], 0, v5
	s_cbranch_vccnz .LBB0_10
; %bb.9:
	s_trap 2
	ds_read_b64 v[7:8], v0
	v_lshlrev_b64 v[2:3], 3, v[2:3]
	s_movk_i32 s6, 0xa8
	s_waitcnt lgkmcnt(0)
	v_add_co_u32_e32 v2, vcc, v7, v2
	v_addc_co_u32_e32 v3, vcc, v8, v3, vcc
	flat_load_dwordx2 v[2:3], v[2:3]
	v_and_b32_e32 v7, 0xffff, v6
	s_waitcnt vmcnt(0) lgkmcnt(0)
	v_mad_u64_u32 v[2:3], s[6:7], v7, s6, v[2:3]
	s_mov_b32 s6, 1
	flat_load_dwordx2 v[7:8], v[2:3] offset:504
	v_add_co_u32_e32 v25, vcc, 0x1f8, v2
	v_addc_co_u32_e32 v26, vcc, 0, v3, vcc
	s_waitcnt vmcnt(0) lgkmcnt(0)
	buffer_store_dword v7, off, s[0:3], s32 offset:72 ; 4-byte Folded Spill
	s_nop 0
	buffer_store_dword v8, off, s[0:3], s32 offset:76 ; 4-byte Folded Spill
	flat_load_dwordx2 v[36:37], v[2:3] offset:608
	v_cndmask_b32_e64 v3, 0, v26, s[4:5]
	v_cndmask_b32_e64 v2, 0, v25, s[4:5]
	s_branch .LBB0_11
.LBB0_10:
	v_mov_b32_e32 v25, 0
	v_mov_b32_e32 v2, 0
	;; [unrolled: 1-line block ×4, first 2 shown]
                                        ; implicit-def: $vgpr36_vgpr37
                                        ; implicit-def: $vgpr7_vgpr8
                                        ; kill: killed $vgpr7_vgpr8
.LBB0_11:
	s_trap 2
	ds_read_b32 v13, v0
	s_waitcnt lgkmcnt(0)
	v_cmp_gt_i32_e32 vcc, 0, v13
	s_cbranch_vccnz .LBB0_13
; %bb.12:
	s_trap 2
	ds_read_b64 v[7:8], v0
	v_mov_b32_e32 v14, 0
	v_lshlrev_b64 v[9:10], 3, v[13:14]
	v_and_b32_e32 v6, 0xffff, v6
	s_movk_i32 s4, 0xa8
	s_waitcnt lgkmcnt(0)
	v_add_co_u32_e32 v7, vcc, v7, v9
	v_addc_co_u32_e32 v8, vcc, v8, v10, vcc
	flat_load_dwordx2 v[7:8], v[7:8]
	v_cmp_eq_u32_e32 vcc, 0, v5
	s_waitcnt vmcnt(0) lgkmcnt(0)
	v_mad_u64_u32 v[9:10], s[4:5], v6, s4, v[7:8]
	flat_load_dwordx2 v[38:39], v[9:10]
	flat_load_dwordx2 v[21:22], v[9:10] offset:104
	v_cndmask_b32_e32 v16, 0, v10, vcc
	v_cndmask_b32_e32 v15, 0, v9, vcc
	s_branch .LBB0_14
.LBB0_13:
	v_mov_b32_e32 v15, 0
	v_mov_b32_e32 v16, 0
                                        ; implicit-def: $vgpr21_vgpr22
                                        ; implicit-def: $vgpr38_vgpr39
.LBB0_14:
	v_subrev_u32_e32 v6, 64, v1
	v_cmp_ge_i32_e32 vcc, v4, v6
	v_cmp_gt_u32_e64 s[4:5], s6, v5
	v_mov_b32_e32 v13, 0
	v_mov_b32_e32 v5, 0
	;; [unrolled: 1-line block ×4, first 2 shown]
	s_and_b64 s[24:25], vcc, s[4:5]
	buffer_store_dword v5, off, s[0:3], s32 offset:64 ; 4-byte Folded Spill
	s_nop 0
	buffer_store_dword v6, off, s[0:3], s32 offset:68 ; 4-byte Folded Spill
                                        ; implicit-def: $vgpr48_vgpr49
	s_and_saveexec_b64 s[4:5], s[24:25]
	s_cbranch_execz .LBB0_16
; %bb.15:
	flat_load_dwordx2 v[5:6], v[2:3] offset:56
	s_waitcnt vmcnt(0) lgkmcnt(0)
	buffer_store_dword v5, off, s[0:3], s32 offset:64 ; 4-byte Folded Spill
	s_nop 0
	buffer_store_dword v6, off, s[0:3], s32 offset:68 ; 4-byte Folded Spill
	flat_load_dwordx2 v[48:49], v[2:3] offset:104
.LBB0_16:
	s_or_b64 exec, exec, s[4:5]
	v_mov_b32_e32 v52, 0
	v_mov_b32_e32 v53, 0
	v_cmp_gt_u32_e64 s[4:5], s6, v4
                                        ; implicit-def: $vgpr54_vgpr55
	s_and_saveexec_b64 s[6:7], s[4:5]
	s_cbranch_execz .LBB0_18
; %bb.17:
	flat_load_dwordx2 v[52:53], v[15:16] offset:56
	s_waitcnt vmcnt(0) lgkmcnt(0)
	flat_load_dwordx2 v[54:55], v[52:53] glc
	s_waitcnt vmcnt(0)
	flat_load_dwordx4 v[13:16], v[15:16] offset:96
.LBB0_18:
	s_or_b64 exec, exec, s[6:7]
	buffer_load_dword v32, off, s[0:3], s32 offset:88 ; 4-byte Folded Reload
	buffer_load_dword v33, off, s[0:3], s32 offset:92 ; 4-byte Folded Reload
	;; [unrolled: 1-line block ×4, first 2 shown]
	v_mov_b32_e32 v60, 0
	v_mov_b32_e32 v61, 0
	s_waitcnt vmcnt(0)
	v_cmp_ne_u64_e32 vcc, 0, v[34:35]
	s_and_saveexec_b64 s[26:27], vcc
	s_cbranch_execnz .LBB0_22
; %bb.19:
	s_or_b64 exec, exec, s[26:27]
	s_and_saveexec_b64 s[6:7], s[24:25]
	s_cbranch_execnz .LBB0_195
.LBB0_20:
	s_or_b64 exec, exec, s[6:7]
	s_and_saveexec_b64 s[6:7], s[4:5]
	s_cbranch_execnz .LBB0_196
.LBB0_21:
	s_or_b64 exec, exec, s[6:7]
	v_cmp_ne_u32_e32 vcc, 64, v1
	s_and_saveexec_b64 s[4:5], vcc
	s_cbranch_execnz .LBB0_197
	s_branch .LBB0_214
.LBB0_22:
	v_add_co_u32_e32 v2, vcc, v19, v32
	s_ashr_i32 s6, s8, 31
	v_addc_co_u32_e32 v5, vcc, v20, v33, vcc
	s_lshr_b32 s6, s6, 29
	v_add_co_u32_e32 v42, vcc, v2, v29
	s_ashr_i32 s23, s22, 31
	s_add_i32 s8, s8, s6
	v_addc_co_u32_e32 v43, vcc, v5, v0, vcc
	s_lshl_b64 s[6:7], s[22:23], 2
	v_mov_b32_e32 v0, s7
	v_add_co_u32_e32 v2, vcc, s6, v23
	v_addc_co_u32_e32 v0, vcc, v24, v0, vcc
	v_add_co_u32_e32 v5, vcc, -4, v2
	v_addc_co_u32_e32 v6, vcc, -1, v0, vcc
	buffer_store_dword v25, off, s[0:3], s32 offset:212 ; 4-byte Folded Spill
	s_nop 0
	buffer_store_dword v26, off, s[0:3], s32 offset:216 ; 4-byte Folded Spill
	buffer_store_dword v9, off, s[0:3], s32 offset:204 ; 4-byte Folded Spill
	s_nop 0
	buffer_store_dword v10, off, s[0:3], s32 offset:208 ; 4-byte Folded Spill
	;; [unrolled: 3-line block ×3, first 2 shown]
	v_and_b32_e32 v0, 63, v31
	v_cmp_eq_u32_e64 s[12:13], 0, v0
	v_lshrrev_b32_e32 v0, 6, v1
	v_lshlrev_b32_e32 v5, 1, v4
	s_ashr_i32 s10, s8, 3
	buffer_store_dword v0, off, s[0:3], s32 offset:84 ; 4-byte Folded Spill
	v_mov_b32_e32 v0, v5
	s_and_b32 s23, s10, -16
	v_cmp_ne_u32_e64 s[10:11], 64, v1
	buffer_store_dword v11, off, s[0:3], s32 offset:200 ; 4-byte Folded Spill
	v_cmp_ne_u32_sdwa s[42:43], v1, v11 src0_sel:DWORD src1_sel:WORD_0
	buffer_store_dword v31, off, s[0:3], s32 offset:196 ; 4-byte Folded Spill
	v_lshlrev_b32_e32 v56, 1, v1
	buffer_store_dword v0, off, s[0:3], s32 offset:128 ; 4-byte Folded Spill
	s_nop 0
	buffer_store_dword v1, off, s[0:3], s32 offset:132 ; 4-byte Folded Spill
	buffer_load_dword v9, off, s[0:3], s32 offset:144 ; 4-byte Folded Reload
	buffer_load_dword v10, off, s[0:3], s32 offset:148 ; 4-byte Folded Reload
	;; [unrolled: 1-line block ×4, first 2 shown]
	v_mov_b32_e32 v3, 0
	v_mov_b32_e32 v6, v3
	v_lshlrev_b64 v[7:8], 2, v[5:6]
	s_ashr_i32 s94, s8, 7
	v_cmp_ne_u64_e64 s[6:7], 0, v[52:53]
	s_waitcnt lgkmcnt(0)
	v_cmp_ne_u64_e64 s[8:9], 0, v[13:14]
	s_cmp_gt_i32 s22, 2
	v_mov_b32_e32 v32, 0
	v_mov_b32_e32 v60, 0
	v_and_b32_e32 v50, 0x7ffffc, v17
	s_mov_b32 s29, 0
	v_mov_b32_e32 v51, v3
	s_mov_b64 s[40:41], 0
	v_mov_b32_e32 v57, v3
	s_cselect_b64 s[44:45], -1, 0
	s_mov_b64 s[46:47], 0x7ffffff8
	v_mov_b32_e32 v25, 0
	v_mov_b32_e32 v33, 0
	;; [unrolled: 1-line block ×3, first 2 shown]
	s_waitcnt vmcnt(3)
	v_and_b32_e32 v2, 3, v9
	v_cmp_eq_u64_e64 s[16:17], 0, v[2:3]
	s_waitcnt vmcnt(1)
	v_add_co_u32_e32 v0, vcc, v11, v7
	buffer_store_dword v0, off, s[0:3], s32 offset:168 ; 4-byte Folded Spill
	s_waitcnt vmcnt(1)
	v_addc_co_u32_e32 v0, vcc, v12, v8, vcc
	buffer_store_dword v0, off, s[0:3], s32 offset:172 ; 4-byte Folded Spill
	v_add_co_u32_e32 v0, vcc, v9, v7
	buffer_load_dword v5, off, s[0:3], s32 offset:64 ; 4-byte Folded Reload
	buffer_load_dword v6, off, s[0:3], s32 offset:68 ; 4-byte Folded Reload
	s_nop 0
	buffer_store_dword v0, off, s[0:3], s32 offset:176 ; 4-byte Folded Spill
	buffer_store_dword v7, off, s[0:3], s32 offset:160 ; 4-byte Folded Spill
	s_nop 0
	buffer_store_dword v8, off, s[0:3], s32 offset:164 ; 4-byte Folded Spill
	v_addc_co_u32_e32 v0, vcc, v10, v8, vcc
	buffer_store_dword v0, off, s[0:3], s32 offset:180 ; 4-byte Folded Spill
	buffer_load_dword v8, off, s[0:3], s32 offset:104 ; 4-byte Folded Reload
	buffer_load_dword v9, off, s[0:3], s32 offset:108 ; 4-byte Folded Reload
	s_waitcnt vmcnt(6)
	v_cmp_ne_u64_e64 s[14:15], 0, v[5:6]
	v_mov_b32_e32 v5, v3
	v_lshlrev_b64 v[6:7], 3, v[4:5]
	s_waitcnt vmcnt(0)
	v_lshlrev_b64 v[8:9], 2, v[8:9]
	v_add_co_u32_e32 v0, vcc, v6, v8
	v_addc_co_u32_e32 v2, vcc, v7, v9, vcc
	v_add_co_u32_e32 v11, vcc, v11, v0
	v_lshlrev_b64 v[5:6], 4, v[4:5]
	v_addc_co_u32_e32 v12, vcc, v12, v2, vcc
	v_lshlrev_b32_e32 v0, 2, v17
	v_and_b32_e32 v41, 0x1fffff0, v0
	v_mov_b32_e32 v2, v3
	v_add_co_u32_e32 v0, vcc, v38, v5
	v_lshlrev_b64 v[62:63], 3, v[1:2]
	buffer_store_dword v0, off, s[0:3], s32 offset:188 ; 4-byte Folded Spill
	v_addc_co_u32_e32 v0, vcc, v39, v6, vcc
	v_lshlrev_b64 v[5:6], 4, v[1:2]
	v_mov_b32_e32 v9, v34
	v_mov_b32_e32 v10, v35
	buffer_store_dword v0, off, s[0:3], s32 offset:192 ; 4-byte Folded Spill
	buffer_store_dword v50, off, s[0:3], s32 offset:112 ; 4-byte Folded Spill
	s_nop 0
	buffer_store_dword v51, off, s[0:3], s32 offset:116 ; 4-byte Folded Spill
	buffer_store_dword v41, off, s[0:3], s32 offset:184 ; 4-byte Folded Spill
	s_branch .LBB0_24
.LBB0_23:                               ;   in Loop: Header=BB0_24 Depth=1
	s_or_b64 exec, exec, s[18:19]
	v_add_co_u32_e32 v36, vcc, 1, v36
	v_addc_co_u32_e32 v37, vcc, 0, v37, vcc
	s_waitcnt vmcnt(0)
	v_add_co_u32_e32 v32, vcc, v32, v50
	v_addc_co_u32_e32 v33, vcc, 0, v33, vcc
	v_add_co_u32_e32 v11, vcc, v11, v41
	v_addc_co_u32_e32 v12, vcc, 0, v12, vcc
	v_cmp_ge_u64_e32 vcc, v[32:33], v[9:10]
	s_or_b64 s[40:41], vcc, s[40:41]
	s_andn2_b64 exec, exec, s[40:41]
	s_cbranch_execz .LBB0_194
.LBB0_24:                               ; =>This Loop Header: Depth=1
                                        ;     Child Loop BB0_29 Depth 2
                                        ;     Child Loop BB0_48 Depth 2
	;; [unrolled: 1-line block ×5, first 2 shown]
                                        ;       Child Loop BB0_76 Depth 3
                                        ;       Child Loop BB0_95 Depth 3
	;; [unrolled: 1-line block ×3, first 2 shown]
                                        ;         Child Loop BB0_123 Depth 4
                                        ;       Child Loop BB0_137 Depth 3
                                        ;       Child Loop BB0_112 Depth 3
                                        ;     Child Loop BB0_152 Depth 2
                                        ;       Child Loop BB0_158 Depth 3
                                        ;     Child Loop BB0_181 Depth 2
	buffer_load_dword v7, off, s[0:3], s32 offset:120 ; 4-byte Folded Reload
	buffer_load_dword v8, off, s[0:3], s32 offset:124 ; 4-byte Folded Reload
	s_waitcnt vmcnt(0)
	flat_load_dword v7, v[7:8]
	v_sub_co_u32_e32 v8, vcc, v9, v32
	v_subb_co_u32_e32 v9, vcc, v10, v33, vcc
	v_cmp_lt_u64_e32 vcc, v[50:51], v[8:9]
	v_cndmask_b32_e32 v8, v8, v50, vcc
	v_lshl_add_u32 v0, v8, 3, 8
	v_and_b32_e32 v0, 0x7fffff0, v0
	buffer_store_dword v0, off, s[0:3], s32 offset:80 ; 4-byte Folded Spill
	s_and_saveexec_b64 s[20:21], s[6:7]
	s_cbranch_execz .LBB0_40
; %bb.25:                               ;   in Loop: Header=BB0_24 Depth=1
	v_add_co_u32_e32 v9, vcc, 1, v15
	v_addc_co_u32_e32 v10, vcc, 0, v16, vcc
	s_waitcnt lgkmcnt(0)
	v_add_co_u32_e32 v16, vcc, 8, v54
	v_addc_co_u32_e32 v17, vcc, 0, v55, vcc
	v_cmp_lt_u64_e32 vcc, v[16:17], v[9:10]
	s_and_saveexec_b64 s[56:57], vcc
	s_cbranch_execz .LBB0_37
; %bb.26:                               ;   in Loop: Header=BB0_24 Depth=1
	s_mov_b32 s28, 0
	v_cmp_eq_u32_e32 vcc, 0, v25
	s_mov_b64 s[58:59], 0
                                        ; implicit-def: $sgpr60_sgpr61
                                        ; implicit-def: $sgpr62_sgpr63
                                        ; implicit-def: $sgpr72_sgpr73
	s_branch .LBB0_29
.LBB0_27:                               ;   in Loop: Header=BB0_29 Depth=2
	s_or_b64 exec, exec, s[90:91]
	s_andn2_b64 s[18:19], s[72:73], exec
	s_and_b64 s[72:73], s[78:79], exec
	s_or_b64 s[72:73], s[18:19], s[72:73]
	s_andn2_b64 s[18:19], s[62:63], exec
	s_and_b64 s[62:63], s[76:77], exec
	s_or_b64 s[62:63], s[18:19], s[62:63]
.LBB0_28:                               ;   in Loop: Header=BB0_29 Depth=2
	s_or_b64 exec, exec, s[74:75]
	s_and_b64 s[18:19], exec, s[62:63]
	s_or_b64 s[58:59], s[18:19], s[58:59]
	s_andn2_b64 s[18:19], s[60:61], exec
	s_and_b64 s[60:61], s[72:73], exec
	s_or_b64 s[60:61], s[18:19], s[60:61]
	s_andn2_b64 exec, exec, s[58:59]
	s_cbranch_execz .LBB0_34
.LBB0_29:                               ;   Parent Loop BB0_24 Depth=1
                                        ; =>  This Inner Loop Header: Depth=2
	s_sleep 1
	s_waitcnt vmcnt(0) lgkmcnt(0)
	flat_load_dwordx2 v[54:55], v[52:53] glc
	v_mov_b32_e32 v25, 1
	s_or_b64 s[72:73], s[72:73], exec
	s_or_b64 s[62:63], s[62:63], exec
                                        ; implicit-def: $vgpr0
	s_and_saveexec_b64 s[74:75], vcc
	s_cbranch_execz .LBB0_28
; %bb.30:                               ;   in Loop: Header=BB0_29 Depth=2
	s_add_i32 s28, s28, 1
	s_cmpk_lg_i32 s28, 0x2710
	s_cselect_b64 s[88:89], -1, 0
	s_cmpk_eq_i32 s28, 0x2710
	s_mov_b64 s[76:77], -1
	s_mov_b64 s[78:79], -1
                                        ; implicit-def: $vgpr0
	s_cbranch_scc1 .LBB0_32
; %bb.31:                               ;   in Loop: Header=BB0_29 Depth=2
	v_mov_b32_e32 v25, 1
	s_and_saveexec_b64 s[90:91], s[88:89]
	s_cbranch_execz .LBB0_27
	s_branch .LBB0_33
.LBB0_32:                               ;   in Loop: Header=BB0_29 Depth=2
	s_trap 2
	ds_read_b64 v[16:17], v0
	s_andn2_b64 s[88:89], s[88:89], exec
	s_mov_b32 s28, 0
	s_mov_b64 s[78:79], 0
	s_waitcnt vmcnt(0) lgkmcnt(0)
	flat_load_dword v0, v[16:17] glc
	s_waitcnt vmcnt(0) lgkmcnt(0)
	buffer_wbinvl1_vol
	v_cmp_eq_u32_e64 s[18:19], 0, v0
	s_and_b64 s[18:19], s[18:19], exec
	s_or_b64 s[88:89], s[88:89], s[18:19]
	v_mov_b32_e32 v25, 1
	s_and_saveexec_b64 s[90:91], s[88:89]
	s_cbranch_execz .LBB0_27
.LBB0_33:                               ;   in Loop: Header=BB0_29 Depth=2
	s_waitcnt vmcnt(0) lgkmcnt(0)
	v_add_co_u32_e64 v16, s[18:19], 8, v54
	v_addc_co_u32_e64 v17, s[18:19], 0, v55, s[18:19]
	v_cmp_ge_u64_e64 s[18:19], v[16:17], v[9:10]
	v_mov_b32_e32 v25, 0
	s_or_b64 s[78:79], s[78:79], exec
	s_orn2_b64 s[76:77], s[18:19], exec
	s_branch .LBB0_27
.LBB0_34:                               ;   in Loop: Header=BB0_24 Depth=1
	s_or_b64 exec, exec, s[58:59]
	s_xor_b64 s[18:19], s[60:61], -1
	s_and_saveexec_b64 s[58:59], s[18:19]
	s_xor_b64 s[18:19], exec, s[58:59]
	s_cbranch_execz .LBB0_36
; %bb.35:                               ;   in Loop: Header=BB0_24 Depth=1
	v_mov_b32_e32 v25, 1
	s_waitcnt lgkmcnt(0)
	ds_write_b32 v0, v0
	s_trap 2
.LBB0_36:                               ;   in Loop: Header=BB0_24 Depth=1
	s_or_b64 exec, exec, s[18:19]
.LBB0_37:                               ;   in Loop: Header=BB0_24 Depth=1
	s_or_b64 exec, exec, s[56:57]
	s_and_saveexec_b64 s[18:19], s[8:9]
	s_cbranch_execz .LBB0_39
; %bb.38:                               ;   in Loop: Header=BB0_24 Depth=1
	v_and_b32_e32 v2, 0x7ffffff8, v15
	v_cmp_eq_u64_e32 vcc, s[46:47], v[2:3]
	buffer_load_dword v2, off, s[0:3], s32 offset:80 ; 4-byte Folded Reload
	v_and_b32_e32 v0, 7, v15
	v_mad_u64_u32 v[15:16], s[56:57], v0, 24, v[13:14]
	v_mov_b32_e32 v0, s23
	s_waitcnt vmcnt(0)
	v_cndmask_b32_e32 v17, v2, v0, vcc
	v_ashrrev_i32_e32 v18, 31, v17
	flat_store_dwordx2 v[15:16], v[17:18] offset:8
	s_waitcnt vmcnt(0)
.LBB0_39:                               ;   in Loop: Header=BB0_24 Depth=1
	s_or_b64 exec, exec, s[18:19]
	v_mov_b32_e32 v16, v10
	v_mov_b32_e32 v15, v9
.LBB0_40:                               ;   in Loop: Header=BB0_24 Depth=1
	s_or_b64 exec, exec, s[20:21]
	s_and_saveexec_b64 s[18:19], s[10:11]
	s_cbranch_execz .LBB0_59
; %bb.41:                               ;   in Loop: Header=BB0_24 Depth=1
	s_and_saveexec_b64 s[20:21], s[42:43]
	s_xor_b64 s[20:21], exec, s[20:21]
	s_cbranch_execz .LBB0_56
; %bb.42:                               ;   in Loop: Header=BB0_24 Depth=1
	s_and_saveexec_b64 s[56:57], s[12:13]
	s_cbranch_execz .LBB0_55
; %bb.43:                               ;   in Loop: Header=BB0_24 Depth=1
	s_mov_b64 s[60:61], exec
	v_mbcnt_lo_u32_b32 v0, s60, 0
	v_mbcnt_hi_u32_b32 v0, s61, v0
	v_cmp_eq_u32_e32 vcc, 0, v0
	s_waitcnt vmcnt(0) lgkmcnt(0)
	buffer_wbinvl1_vol
	s_and_saveexec_b64 s[58:59], vcc
	s_cbranch_execz .LBB0_45
; %bb.44:                               ;   in Loop: Header=BB0_24 Depth=1
	s_bcnt1_i32_b64 s28, s[60:61]
	v_mov_b32_e32 v2, s28
	ds_add_u64 v0, v[2:3]
	s_trap 2
.LBB0_45:                               ;   in Loop: Header=BB0_24 Depth=1
	s_or_b64 exec, exec, s[58:59]
	s_trap 2
	ds_read_b64 v[9:10], v0
	s_waitcnt lgkmcnt(0)
	buffer_load_dword v0, off, s[0:3], s32 offset:84 ; 4-byte Folded Reload
	s_waitcnt vmcnt(0)
	v_add_co_u32_e32 v60, vcc, v60, v0
	v_addc_co_u32_e32 v61, vcc, 0, v61, vcc
	v_cmp_lt_u64_e32 vcc, v[9:10], v[60:61]
	s_and_saveexec_b64 s[58:59], vcc
	s_cbranch_execz .LBB0_54
; %bb.46:                               ;   in Loop: Header=BB0_24 Depth=1
	s_mov_b32 s28, 0
	s_mov_b64 s[60:61], 0
                                        ; implicit-def: $sgpr62_sgpr63
                                        ; implicit-def: $sgpr72_sgpr73
	s_branch .LBB0_48
.LBB0_47:                               ;   in Loop: Header=BB0_48 Depth=2
	s_or_b64 exec, exec, s[76:77]
	s_and_b64 s[74:75], exec, s[78:79]
	s_or_b64 s[60:61], s[74:75], s[60:61]
	s_andn2_b64 s[62:63], s[62:63], exec
	s_and_b64 s[74:75], s[72:73], exec
	s_or_b64 s[62:63], s[62:63], s[74:75]
	s_andn2_b64 exec, exec, s[60:61]
	s_cbranch_execz .LBB0_52
.LBB0_48:                               ;   Parent Loop BB0_24 Depth=1
                                        ; =>  This Inner Loop Header: Depth=2
	s_add_i32 s28, s28, 1
	s_cmpk_lg_i32 s28, 0x2710
	s_cselect_b64 s[74:75], -1, 0
	s_and_b64 vcc, exec, s[74:75]
	s_cbranch_vccz .LBB0_50
; %bb.49:                               ;   in Loop: Header=BB0_48 Depth=2
	s_mov_b64 s[78:79], -1
	s_or_b64 s[72:73], s[72:73], exec
	s_and_saveexec_b64 s[76:77], s[74:75]
	s_cbranch_execz .LBB0_47
	s_branch .LBB0_51
.LBB0_50:                               ;   in Loop: Header=BB0_48 Depth=2
	s_trap 2
	ds_read_b64 v[9:10], v0
	s_andn2_b64 s[74:75], s[74:75], exec
	s_mov_b32 s28, 0
	s_waitcnt lgkmcnt(0)
	flat_load_dword v0, v[9:10] glc
	s_waitcnt vmcnt(0) lgkmcnt(0)
	buffer_wbinvl1_vol
	v_cmp_eq_u32_e32 vcc, 0, v0
	s_and_b64 s[76:77], vcc, exec
	s_or_b64 s[74:75], s[74:75], s[76:77]
	s_mov_b64 s[78:79], -1
	s_or_b64 s[72:73], s[72:73], exec
	s_and_saveexec_b64 s[76:77], s[74:75]
	s_cbranch_execz .LBB0_47
.LBB0_51:                               ;   in Loop: Header=BB0_48 Depth=2
	s_sleep 1
	s_trap 2
	ds_read_b64 v[9:10], v0
	s_waitcnt lgkmcnt(0)
	s_andn2_b64 s[72:73], s[72:73], exec
	v_cmp_ge_u64_e32 vcc, v[9:10], v[60:61]
	s_orn2_b64 s[78:79], vcc, exec
	s_branch .LBB0_47
.LBB0_52:                               ;   in Loop: Header=BB0_24 Depth=1
	s_or_b64 exec, exec, s[60:61]
	s_and_saveexec_b64 s[60:61], s[62:63]
	s_xor_b64 s[60:61], exec, s[60:61]
	s_cbranch_execz .LBB0_54
; %bb.53:                               ;   in Loop: Header=BB0_24 Depth=1
	v_mov_b32_e32 v0, 1
	ds_write_b32 v0, v0
	s_trap 2
.LBB0_54:                               ;   in Loop: Header=BB0_24 Depth=1
	s_or_b64 exec, exec, s[58:59]
	;;#ASMSTART
	s_wakeup
	;;#ASMEND
.LBB0_55:                               ;   in Loop: Header=BB0_24 Depth=1
	s_or_b64 exec, exec, s[56:57]
.LBB0_56:                               ;   in Loop: Header=BB0_24 Depth=1
	s_andn2_saveexec_b64 s[20:21], s[20:21]
	s_cbranch_execz .LBB0_58
; %bb.57:                               ;   in Loop: Header=BB0_24 Depth=1
	s_waitcnt vmcnt(0) lgkmcnt(0)
	buffer_wbinvl1_vol
	s_barrier
.LBB0_58:                               ;   in Loop: Header=BB0_24 Depth=1
	s_or_b64 exec, exec, s[20:21]
.LBB0_59:                               ;   in Loop: Header=BB0_24 Depth=1
	s_or_b64 exec, exec, s[18:19]
	buffer_load_dword v9, off, s[0:3], s32 offset:128 ; 4-byte Folded Reload
	buffer_load_dword v10, off, s[0:3], s32 offset:132 ; 4-byte Folded Reload
	v_and_b32_e32 v0, 7, v21
	v_add_u32_e32 v18, 1, v21
	s_waitcnt vmcnt(0)
	v_sub_u32_e32 v34, v8, v9
	v_cmp_lt_i32_e64 s[18:19], 0, v34
	v_mov_b32_e32 v9, v4
	s_and_saveexec_b64 s[20:21], s[18:19]
	s_cbranch_execz .LBB0_65
; %bb.60:                               ;   in Loop: Header=BB0_24 Depth=1
	v_lshlrev_b64 v[9:10], 2, v[42:43]
	s_waitcnt lgkmcnt(0)
	v_ashrrev_i32_e32 v2, 31, v7
	v_mul_lo_u32 v10, v10, v7
	v_mul_lo_u32 v2, v9, v2
	v_mad_u64_u32 v[28:29], s[56:57], v9, v7, 0
	v_mul_lo_u32 v8, v0, s94
	s_mov_b64 s[56:57], 0
	v_add3_u32 v29, v29, v2, v10
	buffer_load_dword v2, off, s[0:3], s32 offset:188 ; 4-byte Folded Reload
	v_ashrrev_i32_e32 v9, 31, v8
	v_lshlrev_b64 v[7:8], 4, v[8:9]
	v_mov_b32_e32 v9, v4
                                        ; implicit-def: $vgpr44_vgpr45
	s_waitcnt vmcnt(0)
	v_add_co_u32_e32 v30, vcc, v2, v7
	buffer_load_dword v2, off, s[0:3], s32 offset:192 ; 4-byte Folded Reload
	s_waitcnt vmcnt(0)
	v_addc_co_u32_e32 v31, vcc, v2, v8, vcc
	v_mov_b32_e32 v2, v34
	s_branch .LBB0_62
.LBB0_61:                               ;   in Loop: Header=BB0_62 Depth=2
	s_or_b64 exec, exec, s[58:59]
	s_waitcnt vmcnt(0)
	v_mul_lo_u32 v17, v7, v27
	v_mul_lo_u32 v19, v45, v27
	v_add_co_u32_e32 v28, vcc, v28, v62
	v_sub_u32_e32 v2, v2, v56
	v_addc_co_u32_e32 v29, vcc, v29, v63, vcc
	v_mov_b32_e32 v20, v18
	v_cmp_gt_i32_e32 vcc, 1, v2
	global_store_dwordx4 v[30:31], v[17:20], off
	s_or_b64 s[56:57], vcc, s[56:57]
	v_add_co_u32_e32 v30, vcc, v30, v5
	v_add_u32_e32 v9, v9, v1
	v_addc_co_u32_e32 v31, vcc, v31, v6, vcc
	s_andn2_b64 exec, exec, s[56:57]
	s_cbranch_execz .LBB0_64
.LBB0_62:                               ;   Parent Loop BB0_24 Depth=1
                                        ; =>  This Inner Loop Header: Depth=2
	v_add_co_u32_e32 v19, vcc, v11, v28
	v_addc_co_u32_e32 v20, vcc, v12, v29, vcc
	global_load_dword v7, v[19:20], off glc slc
	v_cmp_ne_u32_e32 vcc, 1, v2
	s_and_saveexec_b64 s[58:59], vcc
	s_cbranch_execz .LBB0_61
; %bb.63:                               ;   in Loop: Header=BB0_62 Depth=2
	global_load_dword v45, v[19:20], off offset:4 glc slc
	s_branch .LBB0_61
.LBB0_64:                               ;   in Loop: Header=BB0_24 Depth=1
	s_or_b64 exec, exec, s[56:57]
.LBB0_65:                               ;   in Loop: Header=BB0_24 Depth=1
	s_or_b64 exec, exec, s[20:21]
	v_and_b32_e32 v2, 0x7ffffff8, v21
	v_cmp_eq_u64_e32 vcc, s[46:47], v[2:3]
	v_cmp_gt_i32_e64 s[20:21], s94, v9
	s_and_b64 s[20:21], vcc, s[20:21]
	s_and_saveexec_b64 s[56:57], s[20:21]
	s_cbranch_execz .LBB0_68
; %bb.66:                               ;   in Loop: Header=BB0_24 Depth=1
	s_waitcnt lgkmcnt(0)
	v_mul_lo_u32 v7, v0, s94
	v_ashrrev_i32_e32 v10, 31, v9
	v_lshlrev_b64 v[19:20], 4, v[9:10]
	v_mov_b32_e32 v17, v3
	v_ashrrev_i32_e32 v8, 31, v7
	v_lshlrev_b64 v[7:8], 4, v[7:8]
	s_mov_b64 s[58:59], 0
	v_add_co_u32_e32 v0, vcc, v19, v7
	v_addc_co_u32_e32 v2, vcc, v20, v8, vcc
	v_add_co_u32_e32 v28, vcc, v38, v0
	v_addc_co_u32_e32 v29, vcc, v39, v2, vcc
.LBB0_67:                               ;   Parent Loop BB0_24 Depth=1
                                        ; =>  This Inner Loop Header: Depth=2
	v_mov_b32_e32 v19, v17
	v_mov_b32_e32 v20, v18
	v_add_u32_e32 v9, v9, v1
	global_store_dwordx4 v[28:29], v[17:20], off
	v_add_co_u32_e32 v28, vcc, v28, v5
	v_cmp_le_i32_e64 s[20:21], s94, v9
	s_or_b64 s[58:59], s[20:21], s[58:59]
	v_addc_co_u32_e32 v29, vcc, v29, v6, vcc
	s_andn2_b64 exec, exec, s[58:59]
	s_cbranch_execnz .LBB0_67
.LBB0_68:                               ;   in Loop: Header=BB0_24 Depth=1
	s_or_b64 exec, exec, s[56:57]
	s_waitcnt lgkmcnt(0)
	buffer_load_dword v7, off, s[0:3], s32 offset:104 ; 4-byte Folded Reload
	buffer_load_dword v8, off, s[0:3], s32 offset:108 ; 4-byte Folded Reload
	v_add_co_u32_e64 v28, s[20:21], 1, v21
	v_addc_co_u32_e64 v29, s[20:21], 0, v22, s[20:21]
	s_waitcnt vmcnt(1)
	v_add_co_u32_e32 v7, vcc, v32, v7
	s_waitcnt vmcnt(0)
	v_addc_co_u32_e32 v8, vcc, v33, v8, vcc
	v_lshlrev_b64 v[7:8], 2, v[7:8]
	s_andn2_b64 vcc, exec, s[44:45]
	s_cbranch_vccnz .LBB0_148
; %bb.69:                               ;   in Loop: Header=BB0_24 Depth=1
	buffer_load_dword v0, off, s[0:3], s32 offset:168 ; 4-byte Folded Reload
	s_mov_b32 s95, 2
	s_waitcnt vmcnt(0)
	v_add_co_u32_e32 v41, vcc, v0, v7
	buffer_load_dword v0, off, s[0:3], s32 offset:172 ; 4-byte Folded Reload
	s_nop 0
	buffer_store_dword v7, off, s[0:3], s32 offset:136 ; 4-byte Folded Spill
	s_nop 0
	buffer_store_dword v8, off, s[0:3], s32 offset:140 ; 4-byte Folded Spill
	s_waitcnt vmcnt(2)
	v_addc_co_u32_e32 v7, vcc, v0, v8, vcc
	v_add_u16_e32 v8, 1, v21
	s_branch .LBB0_71
.LBB0_70:                               ;   in Loop: Header=BB0_71 Depth=2
	s_or_b64 exec, exec, s[56:57]
	v_add_co_u32_e32 v36, vcc, 1, v36
	v_addc_co_u32_e32 v37, vcc, 0, v37, vcc
	s_add_i32 s95, s95, 1
	v_add_co_u32_e32 v28, vcc, 1, v28
	v_addc_co_u32_e32 v29, vcc, 0, v29, vcc
	s_cmp_eq_u32 s95, s22
	v_add_u16_e32 v8, 1, v8
	s_cbranch_scc1 .LBB0_149
.LBB0_71:                               ;   Parent Loop BB0_24 Depth=1
                                        ; =>  This Loop Header: Depth=2
                                        ;       Child Loop BB0_76 Depth 3
                                        ;       Child Loop BB0_95 Depth 3
	;; [unrolled: 1-line block ×3, first 2 shown]
                                        ;         Child Loop BB0_123 Depth 4
                                        ;       Child Loop BB0_137 Depth 3
                                        ;       Child Loop BB0_112 Depth 3
	s_sub_i32 s28, s22, s95
	s_lshl_b64 s[20:21], s[28:29], 2
	v_mov_b32_e32 v0, s21
	v_add_co_u32_e32 v9, vcc, s20, v23
	v_addc_co_u32_e32 v10, vcc, v24, v0, vcc
	s_waitcnt vmcnt(0) lgkmcnt(0)
	flat_load_dword v17, v[9:10]
	s_and_saveexec_b64 s[56:57], s[6:7]
	s_cbranch_execz .LBB0_87
; %bb.72:                               ;   in Loop: Header=BB0_71 Depth=2
	v_add_co_u32_e32 v9, vcc, 1, v15
	v_addc_co_u32_e32 v10, vcc, 0, v16, vcc
	v_add_co_u32_e32 v18, vcc, 8, v54
	v_addc_co_u32_e32 v19, vcc, 0, v55, vcc
	v_cmp_lt_u64_e32 vcc, v[18:19], v[9:10]
	s_and_saveexec_b64 s[58:59], vcc
	s_cbranch_execz .LBB0_84
; %bb.73:                               ;   in Loop: Header=BB0_71 Depth=2
	s_mov_b32 s28, 0
	v_cmp_eq_u32_e32 vcc, 0, v25
	s_mov_b64 s[60:61], 0
                                        ; implicit-def: $sgpr62_sgpr63
                                        ; implicit-def: $sgpr72_sgpr73
                                        ; implicit-def: $sgpr74_sgpr75
	s_branch .LBB0_76
.LBB0_74:                               ;   in Loop: Header=BB0_76 Depth=3
	s_or_b64 exec, exec, s[92:93]
	s_andn2_b64 s[20:21], s[74:75], exec
	s_and_b64 s[74:75], s[88:89], exec
	s_or_b64 s[74:75], s[20:21], s[74:75]
	s_andn2_b64 s[20:21], s[72:73], exec
	s_and_b64 s[72:73], s[78:79], exec
	s_or_b64 s[72:73], s[20:21], s[72:73]
.LBB0_75:                               ;   in Loop: Header=BB0_76 Depth=3
	s_or_b64 exec, exec, s[76:77]
	s_and_b64 s[20:21], exec, s[72:73]
	s_or_b64 s[60:61], s[20:21], s[60:61]
	s_andn2_b64 s[20:21], s[62:63], exec
	s_and_b64 s[62:63], s[74:75], exec
	s_or_b64 s[62:63], s[20:21], s[62:63]
	s_andn2_b64 exec, exec, s[60:61]
	s_cbranch_execz .LBB0_81
.LBB0_76:                               ;   Parent Loop BB0_24 Depth=1
                                        ;     Parent Loop BB0_71 Depth=2
                                        ; =>    This Inner Loop Header: Depth=3
	s_sleep 1
	s_waitcnt vmcnt(0) lgkmcnt(0)
	flat_load_dwordx2 v[54:55], v[52:53] glc
	v_mov_b32_e32 v25, 1
	s_or_b64 s[74:75], s[74:75], exec
	s_or_b64 s[72:73], s[72:73], exec
                                        ; implicit-def: $vgpr0
	s_and_saveexec_b64 s[76:77], vcc
	s_cbranch_execz .LBB0_75
; %bb.77:                               ;   in Loop: Header=BB0_76 Depth=3
	s_add_i32 s28, s28, 1
	s_cmpk_lg_i32 s28, 0x2710
	s_cselect_b64 s[90:91], -1, 0
	s_cmpk_eq_i32 s28, 0x2710
	s_mov_b64 s[78:79], -1
	s_mov_b64 s[88:89], -1
                                        ; implicit-def: $vgpr0
	s_cbranch_scc1 .LBB0_79
; %bb.78:                               ;   in Loop: Header=BB0_76 Depth=3
	v_mov_b32_e32 v25, 1
	s_and_saveexec_b64 s[92:93], s[90:91]
	s_cbranch_execz .LBB0_74
	s_branch .LBB0_80
.LBB0_79:                               ;   in Loop: Header=BB0_76 Depth=3
	s_trap 2
	ds_read_b64 v[18:19], v0
	s_andn2_b64 s[90:91], s[90:91], exec
	s_mov_b32 s28, 0
	s_mov_b64 s[88:89], 0
	s_waitcnt vmcnt(0) lgkmcnt(0)
	flat_load_dword v0, v[18:19] glc
	s_waitcnt vmcnt(0) lgkmcnt(0)
	buffer_wbinvl1_vol
	v_cmp_eq_u32_e64 s[20:21], 0, v0
	s_and_b64 s[20:21], s[20:21], exec
	s_or_b64 s[90:91], s[90:91], s[20:21]
	v_mov_b32_e32 v25, 1
	s_and_saveexec_b64 s[92:93], s[90:91]
	s_cbranch_execz .LBB0_74
.LBB0_80:                               ;   in Loop: Header=BB0_76 Depth=3
	s_waitcnt vmcnt(0) lgkmcnt(0)
	v_add_co_u32_e64 v18, s[20:21], 8, v54
	v_addc_co_u32_e64 v19, s[20:21], 0, v55, s[20:21]
	v_cmp_ge_u64_e64 s[20:21], v[18:19], v[9:10]
	v_mov_b32_e32 v25, 0
	s_or_b64 s[88:89], s[88:89], exec
	s_orn2_b64 s[78:79], s[20:21], exec
	s_branch .LBB0_74
.LBB0_81:                               ;   in Loop: Header=BB0_71 Depth=2
	s_or_b64 exec, exec, s[60:61]
	s_xor_b64 s[20:21], s[62:63], -1
	s_and_saveexec_b64 s[60:61], s[20:21]
	s_xor_b64 s[20:21], exec, s[60:61]
	s_cbranch_execz .LBB0_83
; %bb.82:                               ;   in Loop: Header=BB0_71 Depth=2
	v_mov_b32_e32 v25, 1
	s_waitcnt lgkmcnt(0)
	ds_write_b32 v0, v0
	s_trap 2
.LBB0_83:                               ;   in Loop: Header=BB0_71 Depth=2
	s_or_b64 exec, exec, s[20:21]
.LBB0_84:                               ;   in Loop: Header=BB0_71 Depth=2
	s_or_b64 exec, exec, s[58:59]
	s_and_saveexec_b64 s[20:21], s[8:9]
	s_cbranch_execz .LBB0_86
; %bb.85:                               ;   in Loop: Header=BB0_71 Depth=2
	v_and_b32_e32 v2, 0x7ffffff8, v15
	v_cmp_eq_u64_e32 vcc, s[46:47], v[2:3]
	buffer_load_dword v2, off, s[0:3], s32 offset:80 ; 4-byte Folded Reload
	v_and_b32_e32 v0, 7, v15
	v_mad_u64_u32 v[15:16], s[58:59], v0, 24, v[13:14]
	v_mov_b32_e32 v0, s23
	s_waitcnt vmcnt(0)
	v_cndmask_b32_e32 v18, v2, v0, vcc
	v_ashrrev_i32_e32 v19, 31, v18
	flat_store_dwordx2 v[15:16], v[18:19] offset:8
	s_waitcnt vmcnt(0)
.LBB0_86:                               ;   in Loop: Header=BB0_71 Depth=2
	s_or_b64 exec, exec, s[20:21]
	v_mov_b32_e32 v16, v10
	v_mov_b32_e32 v15, v9
.LBB0_87:                               ;   in Loop: Header=BB0_71 Depth=2
	s_or_b64 exec, exec, s[56:57]
	s_and_saveexec_b64 s[20:21], s[10:11]
	s_cbranch_execz .LBB0_106
; %bb.88:                               ;   in Loop: Header=BB0_71 Depth=2
	s_and_saveexec_b64 s[56:57], s[42:43]
	s_xor_b64 s[56:57], exec, s[56:57]
	s_cbranch_execz .LBB0_103
; %bb.89:                               ;   in Loop: Header=BB0_71 Depth=2
	s_and_saveexec_b64 s[58:59], s[12:13]
	s_cbranch_execz .LBB0_102
; %bb.90:                               ;   in Loop: Header=BB0_71 Depth=2
	s_mov_b64 s[62:63], exec
	v_mbcnt_lo_u32_b32 v0, s62, 0
	v_mbcnt_hi_u32_b32 v0, s63, v0
	v_cmp_eq_u32_e32 vcc, 0, v0
	s_waitcnt vmcnt(0) lgkmcnt(0)
	buffer_wbinvl1_vol
	s_and_saveexec_b64 s[60:61], vcc
	s_cbranch_execz .LBB0_92
; %bb.91:                               ;   in Loop: Header=BB0_71 Depth=2
	s_bcnt1_i32_b64 s28, s[62:63]
	v_mov_b32_e32 v2, s28
	ds_add_u64 v0, v[2:3]
	s_trap 2
.LBB0_92:                               ;   in Loop: Header=BB0_71 Depth=2
	s_or_b64 exec, exec, s[60:61]
	s_trap 2
	ds_read_b64 v[9:10], v0
	s_waitcnt lgkmcnt(0)
	buffer_load_dword v0, off, s[0:3], s32 offset:84 ; 4-byte Folded Reload
	s_waitcnt vmcnt(0)
	v_add_co_u32_e32 v60, vcc, v60, v0
	v_addc_co_u32_e32 v61, vcc, 0, v61, vcc
	v_cmp_lt_u64_e32 vcc, v[9:10], v[60:61]
	s_and_saveexec_b64 s[60:61], vcc
	s_cbranch_execz .LBB0_101
; %bb.93:                               ;   in Loop: Header=BB0_71 Depth=2
	s_mov_b32 s28, 0
	s_mov_b64 s[62:63], 0
                                        ; implicit-def: $sgpr72_sgpr73
                                        ; implicit-def: $sgpr74_sgpr75
	s_branch .LBB0_95
.LBB0_94:                               ;   in Loop: Header=BB0_95 Depth=3
	s_or_b64 exec, exec, s[78:79]
	s_and_b64 s[76:77], exec, s[88:89]
	s_or_b64 s[62:63], s[76:77], s[62:63]
	s_andn2_b64 s[72:73], s[72:73], exec
	s_and_b64 s[76:77], s[74:75], exec
	s_or_b64 s[72:73], s[72:73], s[76:77]
	s_andn2_b64 exec, exec, s[62:63]
	s_cbranch_execz .LBB0_99
.LBB0_95:                               ;   Parent Loop BB0_24 Depth=1
                                        ;     Parent Loop BB0_71 Depth=2
                                        ; =>    This Inner Loop Header: Depth=3
	s_add_i32 s28, s28, 1
	s_cmpk_lg_i32 s28, 0x2710
	s_cselect_b64 s[76:77], -1, 0
	s_and_b64 vcc, exec, s[76:77]
	s_cbranch_vccz .LBB0_97
; %bb.96:                               ;   in Loop: Header=BB0_95 Depth=3
	s_mov_b64 s[88:89], -1
	s_or_b64 s[74:75], s[74:75], exec
	s_and_saveexec_b64 s[78:79], s[76:77]
	s_cbranch_execz .LBB0_94
	s_branch .LBB0_98
.LBB0_97:                               ;   in Loop: Header=BB0_95 Depth=3
	s_trap 2
	ds_read_b64 v[9:10], v0
	s_andn2_b64 s[76:77], s[76:77], exec
	s_mov_b32 s28, 0
	s_waitcnt lgkmcnt(0)
	flat_load_dword v0, v[9:10] glc
	s_waitcnt vmcnt(0) lgkmcnt(0)
	buffer_wbinvl1_vol
	v_cmp_eq_u32_e32 vcc, 0, v0
	s_and_b64 s[78:79], vcc, exec
	s_or_b64 s[76:77], s[76:77], s[78:79]
	s_mov_b64 s[88:89], -1
	s_or_b64 s[74:75], s[74:75], exec
	s_and_saveexec_b64 s[78:79], s[76:77]
	s_cbranch_execz .LBB0_94
.LBB0_98:                               ;   in Loop: Header=BB0_95 Depth=3
	s_sleep 1
	s_trap 2
	ds_read_b64 v[9:10], v0
	s_waitcnt lgkmcnt(0)
	s_andn2_b64 s[74:75], s[74:75], exec
	v_cmp_ge_u64_e32 vcc, v[9:10], v[60:61]
	s_orn2_b64 s[88:89], vcc, exec
	s_branch .LBB0_94
.LBB0_99:                               ;   in Loop: Header=BB0_71 Depth=2
	s_or_b64 exec, exec, s[62:63]
	s_and_saveexec_b64 s[62:63], s[72:73]
	s_xor_b64 s[62:63], exec, s[62:63]
	s_cbranch_execz .LBB0_101
; %bb.100:                              ;   in Loop: Header=BB0_71 Depth=2
	v_mov_b32_e32 v0, 1
	ds_write_b32 v0, v0
	s_trap 2
.LBB0_101:                              ;   in Loop: Header=BB0_71 Depth=2
	s_or_b64 exec, exec, s[60:61]
	;;#ASMSTART
	s_wakeup
	;;#ASMEND
.LBB0_102:                              ;   in Loop: Header=BB0_71 Depth=2
	s_or_b64 exec, exec, s[58:59]
.LBB0_103:                              ;   in Loop: Header=BB0_71 Depth=2
	s_andn2_saveexec_b64 s[56:57], s[56:57]
	s_cbranch_execz .LBB0_105
; %bb.104:                              ;   in Loop: Header=BB0_71 Depth=2
	s_waitcnt vmcnt(0) lgkmcnt(0)
	buffer_wbinvl1_vol
	s_barrier
.LBB0_105:                              ;   in Loop: Header=BB0_71 Depth=2
	s_or_b64 exec, exec, s[56:57]
.LBB0_106:                              ;   in Loop: Header=BB0_71 Depth=2
	s_or_b64 exec, exec, s[20:21]
	v_add_u32_e32 v18, 1, v28
	v_mov_b32_e32 v2, v4
	s_and_saveexec_b64 s[56:57], s[18:19]
	s_cbranch_execnz .LBB0_113
; %bb.107:                              ;   in Loop: Header=BB0_71 Depth=2
	s_or_b64 exec, exec, s[56:57]
	s_and_saveexec_b64 s[20:21], s[10:11]
	s_cbranch_execnz .LBB0_130
.LBB0_108:                              ;   in Loop: Header=BB0_71 Depth=2
	s_or_b64 exec, exec, s[20:21]
	s_and_saveexec_b64 s[20:21], s[14:15]
	s_cbranch_execz .LBB0_110
.LBB0_109:                              ;   in Loop: Header=BB0_71 Depth=2
	buffer_load_dword v9, off, s[0:3], s32 offset:64 ; 4-byte Folded Reload
	buffer_load_dword v10, off, s[0:3], s32 offset:68 ; 4-byte Folded Reload
	v_add_co_u32_e32 v48, vcc, 1, v48
	v_addc_co_u32_e32 v49, vcc, 0, v49, vcc
	s_waitcnt vmcnt(0)
	flat_store_dwordx2 v[9:10], v[48:49]
.LBB0_110:                              ;   in Loop: Header=BB0_71 Depth=2
	s_or_b64 exec, exec, s[20:21]
	v_and_b32_e32 v9, 0x7ffffff8, v28
	v_mov_b32_e32 v10, v3
	v_cmp_eq_u64_e32 vcc, s[46:47], v[9:10]
	v_cmp_gt_i32_e64 s[20:21], s94, v2
	s_and_b64 s[20:21], vcc, s[20:21]
	s_and_saveexec_b64 s[56:57], s[20:21]
	s_cbranch_execz .LBB0_70
; %bb.111:                              ;   in Loop: Header=BB0_71 Depth=2
	v_and_b32_e32 v0, 7, v8
	v_mul_lo_u32 v9, s94, v0
	v_ashrrev_i32_e32 v20, 31, v2
	v_mov_b32_e32 v19, v2
	v_lshlrev_b64 v[19:20], 4, v[19:20]
	v_ashrrev_i32_e32 v10, 31, v9
	v_lshlrev_b64 v[9:10], 4, v[9:10]
	s_waitcnt vmcnt(0) lgkmcnt(0)
	v_mov_b32_e32 v17, v3
	v_add_co_u32_e32 v0, vcc, v19, v9
	v_addc_co_u32_e32 v10, vcc, v20, v10, vcc
	v_add_co_u32_e32 v9, vcc, v38, v0
	v_addc_co_u32_e32 v10, vcc, v39, v10, vcc
	s_mov_b64 s[58:59], 0
.LBB0_112:                              ;   Parent Loop BB0_24 Depth=1
                                        ;     Parent Loop BB0_71 Depth=2
                                        ; =>    This Inner Loop Header: Depth=3
	v_mov_b32_e32 v19, v17
	v_mov_b32_e32 v20, v18
	v_add_u32_e32 v2, v2, v1
	global_store_dwordx4 v[9:10], v[17:20], off
	v_add_co_u32_e32 v9, vcc, v9, v5
	v_cmp_le_i32_e64 s[20:21], s94, v2
	s_or_b64 s[58:59], s[20:21], s[58:59]
	v_addc_co_u32_e32 v10, vcc, v10, v6, vcc
	s_andn2_b64 exec, exec, s[58:59]
	s_cbranch_execnz .LBB0_112
	s_branch .LBB0_70
.LBB0_113:                              ;   in Loop: Header=BB0_71 Depth=2
	buffer_load_dword v30, off, s[0:3], s32 offset:72 ; 4-byte Folded Reload
	buffer_load_dword v31, off, s[0:3], s32 offset:76 ; 4-byte Folded Reload
	s_waitcnt vmcnt(0) lgkmcnt(0)
	v_ashrrev_i32_e32 v0, 31, v17
	v_mul_lo_u32 v2, v43, v17
	v_mad_u64_u32 v[9:10], s[20:21], v42, v17, 0
	v_mul_lo_u32 v0, v42, v0
	v_add_u32_e32 v40, 1, v36
	s_mov_b64 s[58:59], 0
	v_mov_b32_e32 v26, v34
	v_add3_u32 v10, v10, v0, v2
	v_and_b32_e32 v0, 7, v36
	v_mul_lo_u32 v19, v0, s94
	v_and_b32_e32 v0, 7, v28
	v_lshlrev_b64 v[9:10], 2, v[9:10]
	v_mul_lo_u32 v21, v0, s94
	v_ashrrev_i32_e32 v20, 31, v19
	v_add_co_u32_e32 v9, vcc, v41, v9
	v_lshlrev_b64 v[19:20], 4, v[19:20]
	v_addc_co_u32_e32 v10, vcc, v7, v10, vcc
	v_ashrrev_i32_e32 v22, 31, v21
	v_mov_b32_e32 v2, v4
                                        ; implicit-def: $vgpr44_vgpr45
	v_add_co_u32_e32 v17, vcc, v30, v19
	v_addc_co_u32_e32 v0, vcc, v31, v20, vcc
	v_lshlrev_b64 v[19:20], 4, v[21:22]
	v_add_co_u32_e32 v50, vcc, v38, v19
	v_addc_co_u32_e32 v51, vcc, v39, v20, vcc
	s_branch .LBB0_117
.LBB0_114:                              ;   in Loop: Header=BB0_117 Depth=3
	s_or_b64 exec, exec, s[20:21]
.LBB0_115:                              ;   in Loop: Header=BB0_117 Depth=3
	s_or_b64 exec, exec, s[62:63]
.LBB0_116:                              ;   in Loop: Header=BB0_117 Depth=3
	s_or_b64 exec, exec, s[60:61]
	v_lshlrev_b64 v[30:31], 2, v[56:57]
	s_waitcnt vmcnt(0)
	v_mad_u64_u32 v[19:20], s[20:21], v35, v27, v[19:20]
	v_add_co_u32_e32 v9, vcc, v9, v30
	v_addc_co_u32_e32 v10, vcc, v10, v31, vcc
	v_mad_u64_u32 v[21:22], s[20:21], v45, v27, v[21:22]
	v_add_co_u32_e32 v30, vcc, v50, v46
	v_addc_co_u32_e32 v31, vcc, v51, v47, vcc
	v_sub_u32_e32 v26, v26, v56
	v_cmp_gt_i32_e32 vcc, 1, v26
	v_mov_b32_e32 v20, v18
	v_mov_b32_e32 v22, v18
	s_or_b64 s[58:59], vcc, s[58:59]
	v_add_u32_e32 v2, v2, v1
	global_store_dwordx4 v[30:31], v[19:22], off
	s_andn2_b64 exec, exec, s[58:59]
	s_cbranch_execz .LBB0_129
.LBB0_117:                              ;   Parent Loop BB0_24 Depth=1
                                        ;     Parent Loop BB0_71 Depth=2
                                        ; =>    This Loop Header: Depth=3
                                        ;         Child Loop BB0_123 Depth 4
	global_load_dword v35, v[9:10], off glc slc
	v_cmp_ne_u32_e32 vcc, 1, v26
	s_and_saveexec_b64 s[20:21], vcc
	s_cbranch_execz .LBB0_119
; %bb.118:                              ;   in Loop: Header=BB0_117 Depth=3
	global_load_dword v45, v[9:10], off offset:4 glc slc
.LBB0_119:                              ;   in Loop: Header=BB0_117 Depth=3
	s_or_b64 exec, exec, s[20:21]
	v_lshlrev_b64 v[46:47], 4, v[2:3]
	v_add_co_u32_e32 v58, vcc, v17, v46
	v_addc_co_u32_e32 v59, vcc, v0, v47, vcc
	global_load_dwordx4 v[19:22], v[58:59], off glc slc
	v_cmp_eq_u32_e32 vcc, 0, v25
	v_mov_b32_e32 v25, 1
	s_and_saveexec_b64 s[60:61], vcc
	s_cbranch_execz .LBB0_116
; %bb.120:                              ;   in Loop: Header=BB0_117 Depth=3
	s_waitcnt vmcnt(0)
	v_cmp_ne_u32_e32 vcc, v40, v20
	v_cmp_ne_u32_e64 s[20:21], v40, v22
	s_or_b64 s[20:21], vcc, s[20:21]
	v_mov_b32_e32 v25, 0
	s_and_saveexec_b64 s[62:63], s[20:21]
	s_cbranch_execz .LBB0_115
; %bb.121:                              ;   in Loop: Header=BB0_117 Depth=3
	s_mov_b32 s28, 1
	s_mov_b64 s[74:75], 0
                                        ; implicit-def: $sgpr72_sgpr73
                                        ; implicit-def: $sgpr76_sgpr77
	s_branch .LBB0_123
.LBB0_122:                              ;   in Loop: Header=BB0_123 Depth=4
	s_or_b64 exec, exec, s[88:89]
	s_and_b64 s[20:21], exec, s[20:21]
	s_or_b64 s[74:75], s[20:21], s[74:75]
	s_andn2_b64 s[20:21], s[72:73], exec
	s_and_b64 s[72:73], s[76:77], exec
	s_or_b64 s[72:73], s[20:21], s[72:73]
	s_andn2_b64 exec, exec, s[74:75]
	s_cbranch_execz .LBB0_127
.LBB0_123:                              ;   Parent Loop BB0_24 Depth=1
                                        ;     Parent Loop BB0_71 Depth=2
                                        ;       Parent Loop BB0_117 Depth=3
                                        ; =>      This Inner Loop Header: Depth=4
	global_load_dwordx4 v[19:22], v[58:59], off glc slc
	s_add_i32 s28, s28, 1
	s_mov_b64 s[20:21], -1
	s_cmpk_lg_i32 s28, 0x2710
	s_mov_b64 s[78:79], -1
                                        ; implicit-def: $vgpr44
	s_cbranch_scc0 .LBB0_125
; %bb.124:                              ;   in Loop: Header=BB0_123 Depth=4
	s_or_b64 s[76:77], s[76:77], exec
	s_and_saveexec_b64 s[88:89], s[78:79]
	s_cbranch_execz .LBB0_122
	s_branch .LBB0_126
.LBB0_125:                              ;   in Loop: Header=BB0_123 Depth=4
	s_trap 2
	ds_read_b64 v[30:31], v0
	s_mov_b32 s28, 0
	s_waitcnt vmcnt(0) lgkmcnt(0)
	flat_load_dword v44, v[30:31] glc
	s_waitcnt vmcnt(0) lgkmcnt(0)
	buffer_wbinvl1_vol
	v_cmp_eq_u32_e32 vcc, 0, v44
	s_orn2_b64 s[78:79], vcc, exec
	s_or_b64 s[76:77], s[76:77], exec
	s_and_saveexec_b64 s[88:89], s[78:79]
	s_cbranch_execz .LBB0_122
.LBB0_126:                              ;   in Loop: Header=BB0_123 Depth=4
	s_waitcnt vmcnt(0)
	v_cmp_eq_u32_e32 vcc, v40, v20
	v_cmp_eq_u32_e64 s[20:21], v40, v22
	s_and_b64 s[20:21], vcc, s[20:21]
	s_andn2_b64 s[76:77], s[76:77], exec
	s_orn2_b64 s[20:21], s[20:21], exec
	s_branch .LBB0_122
.LBB0_127:                              ;   in Loop: Header=BB0_117 Depth=3
	s_or_b64 exec, exec, s[74:75]
	v_mov_b32_e32 v25, 0
	s_and_saveexec_b64 s[20:21], s[72:73]
	s_xor_b64 s[20:21], exec, s[20:21]
	s_cbranch_execz .LBB0_114
; %bb.128:                              ;   in Loop: Header=BB0_117 Depth=3
	v_mov_b32_e32 v25, 1
	ds_write_b32 v0, v44
	s_trap 2
	s_branch .LBB0_114
.LBB0_129:                              ;   in Loop: Header=BB0_71 Depth=2
	s_or_b64 exec, exec, s[58:59]
	s_or_b64 exec, exec, s[56:57]
	s_and_saveexec_b64 s[20:21], s[10:11]
	s_cbranch_execz .LBB0_108
.LBB0_130:                              ;   in Loop: Header=BB0_71 Depth=2
	s_and_saveexec_b64 s[56:57], s[42:43]
	s_xor_b64 s[56:57], exec, s[56:57]
	s_cbranch_execz .LBB0_145
; %bb.131:                              ;   in Loop: Header=BB0_71 Depth=2
	s_and_saveexec_b64 s[58:59], s[12:13]
	s_cbranch_execz .LBB0_144
; %bb.132:                              ;   in Loop: Header=BB0_71 Depth=2
	s_mov_b64 s[62:63], exec
	v_mbcnt_lo_u32_b32 v0, s62, 0
	v_mbcnt_hi_u32_b32 v0, s63, v0
	v_cmp_eq_u32_e32 vcc, 0, v0
	s_waitcnt vmcnt(0) lgkmcnt(0)
	buffer_wbinvl1_vol
	s_and_saveexec_b64 s[60:61], vcc
	s_cbranch_execz .LBB0_134
; %bb.133:                              ;   in Loop: Header=BB0_71 Depth=2
	s_bcnt1_i32_b64 s28, s[62:63]
	v_mov_b32_e32 v9, s28
	v_mov_b32_e32 v10, v3
	ds_add_u64 v0, v[9:10]
	s_trap 2
.LBB0_134:                              ;   in Loop: Header=BB0_71 Depth=2
	s_or_b64 exec, exec, s[60:61]
	s_trap 2
	ds_read_b64 v[9:10], v0
	s_waitcnt lgkmcnt(0)
	buffer_load_dword v0, off, s[0:3], s32 offset:84 ; 4-byte Folded Reload
	s_waitcnt vmcnt(0)
	v_add_co_u32_e32 v60, vcc, v60, v0
	v_addc_co_u32_e32 v61, vcc, 0, v61, vcc
	v_cmp_lt_u64_e32 vcc, v[9:10], v[60:61]
	s_and_saveexec_b64 s[60:61], vcc
	s_cbranch_execz .LBB0_143
; %bb.135:                              ;   in Loop: Header=BB0_71 Depth=2
	s_mov_b32 s28, 0
	s_mov_b64 s[62:63], 0
                                        ; implicit-def: $sgpr72_sgpr73
                                        ; implicit-def: $sgpr74_sgpr75
	s_branch .LBB0_137
.LBB0_136:                              ;   in Loop: Header=BB0_137 Depth=3
	s_or_b64 exec, exec, s[78:79]
	s_and_b64 s[76:77], exec, s[88:89]
	s_or_b64 s[62:63], s[76:77], s[62:63]
	s_andn2_b64 s[72:73], s[72:73], exec
	s_and_b64 s[76:77], s[74:75], exec
	s_or_b64 s[72:73], s[72:73], s[76:77]
	s_andn2_b64 exec, exec, s[62:63]
	s_cbranch_execz .LBB0_141
.LBB0_137:                              ;   Parent Loop BB0_24 Depth=1
                                        ;     Parent Loop BB0_71 Depth=2
                                        ; =>    This Inner Loop Header: Depth=3
	s_add_i32 s28, s28, 1
	s_cmpk_lg_i32 s28, 0x2710
	s_cselect_b64 s[76:77], -1, 0
	s_and_b64 vcc, exec, s[76:77]
	s_cbranch_vccz .LBB0_139
; %bb.138:                              ;   in Loop: Header=BB0_137 Depth=3
	s_mov_b64 s[88:89], -1
	s_or_b64 s[74:75], s[74:75], exec
	s_and_saveexec_b64 s[78:79], s[76:77]
	s_cbranch_execz .LBB0_136
	s_branch .LBB0_140
.LBB0_139:                              ;   in Loop: Header=BB0_137 Depth=3
	s_trap 2
	ds_read_b64 v[9:10], v0
	s_andn2_b64 s[76:77], s[76:77], exec
	s_mov_b32 s28, 0
	s_waitcnt lgkmcnt(0)
	flat_load_dword v0, v[9:10] glc
	s_waitcnt vmcnt(0) lgkmcnt(0)
	buffer_wbinvl1_vol
	v_cmp_eq_u32_e32 vcc, 0, v0
	s_and_b64 s[78:79], vcc, exec
	s_or_b64 s[76:77], s[76:77], s[78:79]
	s_mov_b64 s[88:89], -1
	s_or_b64 s[74:75], s[74:75], exec
	s_and_saveexec_b64 s[78:79], s[76:77]
	s_cbranch_execz .LBB0_136
.LBB0_140:                              ;   in Loop: Header=BB0_137 Depth=3
	s_sleep 1
	s_trap 2
	ds_read_b64 v[9:10], v0
	s_waitcnt lgkmcnt(0)
	s_andn2_b64 s[74:75], s[74:75], exec
	v_cmp_ge_u64_e32 vcc, v[9:10], v[60:61]
	s_orn2_b64 s[88:89], vcc, exec
	s_branch .LBB0_136
.LBB0_141:                              ;   in Loop: Header=BB0_71 Depth=2
	s_or_b64 exec, exec, s[62:63]
	s_and_saveexec_b64 s[62:63], s[72:73]
	s_xor_b64 s[62:63], exec, s[62:63]
	s_cbranch_execz .LBB0_143
; %bb.142:                              ;   in Loop: Header=BB0_71 Depth=2
	v_mov_b32_e32 v0, 1
	ds_write_b32 v0, v0
	s_trap 2
.LBB0_143:                              ;   in Loop: Header=BB0_71 Depth=2
	s_or_b64 exec, exec, s[60:61]
	;;#ASMSTART
	s_wakeup
	;;#ASMEND
.LBB0_144:                              ;   in Loop: Header=BB0_71 Depth=2
	s_or_b64 exec, exec, s[58:59]
.LBB0_145:                              ;   in Loop: Header=BB0_71 Depth=2
	s_andn2_saveexec_b64 s[56:57], s[56:57]
	s_cbranch_execz .LBB0_147
; %bb.146:                              ;   in Loop: Header=BB0_71 Depth=2
	s_waitcnt vmcnt(0) lgkmcnt(0)
	buffer_wbinvl1_vol
	s_barrier
.LBB0_147:                              ;   in Loop: Header=BB0_71 Depth=2
	s_or_b64 exec, exec, s[56:57]
	s_or_b64 exec, exec, s[20:21]
	s_and_saveexec_b64 s[20:21], s[14:15]
	s_cbranch_execnz .LBB0_109
	s_branch .LBB0_110
.LBB0_148:                              ;   in Loop: Header=BB0_24 Depth=1
	v_mov_b32_e32 v21, v28
	v_mov_b32_e32 v22, v29
	s_and_saveexec_b64 s[56:57], s[18:19]
	s_cbranch_execnz .LBB0_150
	s_branch .LBB0_173
.LBB0_149:                              ;   in Loop: Header=BB0_24 Depth=1
	buffer_load_dword v50, off, s[0:3], s32 offset:112 ; 4-byte Folded Reload
	buffer_load_dword v51, off, s[0:3], s32 offset:116 ; 4-byte Folded Reload
	;; [unrolled: 1-line block ×5, first 2 shown]
	v_mov_b32_e32 v21, v28
	v_mov_b32_e32 v22, v29
	s_and_saveexec_b64 s[56:57], s[18:19]
	s_cbranch_execz .LBB0_173
.LBB0_150:                              ;   in Loop: Header=BB0_24 Depth=1
	flat_load_dword v0, v[23:24]
	s_waitcnt lgkmcnt(0)
	buffer_load_dword v17, off, s[0:3], s32 offset:144 ; 4-byte Folded Reload
	buffer_load_dword v18, off, s[0:3], s32 offset:148 ; 4-byte Folded Reload
	;; [unrolled: 1-line block ×4, first 2 shown]
	s_waitcnt vmcnt(0)
	v_mov_b32_e32 v31, v8
	v_mov_b32_e32 v30, v7
	v_add_u32_e32 v40, 1, v36
	s_mov_b64 s[58:59], 0
	v_ashrrev_i32_e32 v2, 31, v0
	v_mul_lo_u32 v9, v43, v0
	v_mul_lo_u32 v2, v42, v2
	v_mad_u64_u32 v[7:8], s[18:19], v42, v0, 0
	v_add3_u32 v8, v8, v2, v9
	v_mov_b32_e32 v9, v19
	v_mov_b32_e32 v10, v20
	v_add_co_u32_e32 v0, vcc, v9, v30
	v_lshlrev_b64 v[7:8], 2, v[7:8]
	v_addc_co_u32_e32 v2, vcc, v10, v31, vcc
	v_add_co_u32_e32 v0, vcc, v0, v7
	v_addc_co_u32_e32 v2, vcc, v2, v8, vcc
	buffer_load_dword v7, off, s[0:3], s32 offset:160 ; 4-byte Folded Reload
	buffer_load_dword v8, off, s[0:3], s32 offset:164 ; 4-byte Folded Reload
	s_waitcnt vmcnt(1)
	v_add_co_u32_e32 v28, vcc, v0, v7
	buffer_load_dword v0, off, s[0:3], s32 offset:176 ; 4-byte Folded Reload
	s_waitcnt vmcnt(1)
	v_addc_co_u32_e32 v29, vcc, v2, v8, vcc
	v_mov_b32_e32 v2, v4
	s_waitcnt vmcnt(0)
	v_add_co_u32_e32 v30, vcc, v0, v30
	buffer_load_dword v0, off, s[0:3], s32 offset:180 ; 4-byte Folded Reload
	buffer_load_dword v9, off, s[0:3], s32 offset:72 ; 4-byte Folded Reload
	;; [unrolled: 1-line block ×3, first 2 shown]
	s_waitcnt vmcnt(2)
	v_addc_co_u32_e32 v31, vcc, v0, v31, vcc
	v_and_b32_e32 v0, 7, v36
	v_mul_lo_u32 v7, v0, s94
	v_ashrrev_i32_e32 v8, 31, v7
	v_lshlrev_b64 v[7:8], 4, v[7:8]
	s_waitcnt vmcnt(1)
	v_add_co_u32_e32 v7, vcc, v9, v7
	s_waitcnt vmcnt(0)
	v_addc_co_u32_e32 v8, vcc, v10, v8, vcc
                                        ; implicit-def: $vgpr9_vgpr10
	s_branch .LBB0_152
.LBB0_151:                              ;   in Loop: Header=BB0_152 Depth=2
	v_lshlrev_b64 v[17:18], 2, v[56:57]
	v_sub_u32_e32 v34, v34, v56
	v_add_co_u32_e32 v28, vcc, v28, v17
	v_addc_co_u32_e32 v29, vcc, v29, v18, vcc
	v_add_co_u32_e32 v30, vcc, v30, v17
	v_addc_co_u32_e32 v31, vcc, v31, v18, vcc
	v_cmp_gt_i32_e32 vcc, 1, v34
	s_or_b64 s[58:59], vcc, s[58:59]
	v_add_u32_e32 v2, v2, v1
	s_andn2_b64 exec, exec, s[58:59]
	s_cbranch_execz .LBB0_172
.LBB0_152:                              ;   Parent Loop BB0_24 Depth=1
                                        ; =>  This Loop Header: Depth=2
                                        ;       Child Loop BB0_158 Depth 3
	global_load_dword v0, v[28:29], off glc slc
	v_cmp_ne_u32_e32 vcc, 1, v34
	s_and_saveexec_b64 s[18:19], vcc
	s_cbranch_execz .LBB0_154
; %bb.153:                              ;   in Loop: Header=BB0_152 Depth=2
	global_load_dword v10, v[28:29], off offset:4 glc slc
.LBB0_154:                              ;   in Loop: Header=BB0_152 Depth=2
	s_or_b64 exec, exec, s[18:19]
	v_lshlrev_b64 v[17:18], 4, v[2:3]
	v_add_co_u32_e64 v44, s[18:19], v7, v17
	v_addc_co_u32_e64 v45, s[18:19], v8, v18, s[18:19]
	global_load_dwordx4 v[17:20], v[44:45], off glc slc
	v_cmp_eq_u32_e64 s[18:19], 0, v25
	v_mov_b32_e32 v25, 1
	s_and_saveexec_b64 s[60:61], s[18:19]
	s_cbranch_execz .LBB0_166
; %bb.155:                              ;   in Loop: Header=BB0_152 Depth=2
	s_waitcnt vmcnt(0)
	v_cmp_ne_u32_e64 s[18:19], v40, v18
	v_cmp_ne_u32_e64 s[20:21], v40, v20
	s_or_b64 s[18:19], s[18:19], s[20:21]
	v_mov_b32_e32 v25, 0
	s_and_saveexec_b64 s[62:63], s[18:19]
	s_cbranch_execz .LBB0_165
; %bb.156:                              ;   in Loop: Header=BB0_152 Depth=2
	s_mov_b32 s28, 1
	s_mov_b64 s[74:75], 0
                                        ; implicit-def: $sgpr72_sgpr73
                                        ; implicit-def: $sgpr76_sgpr77
	s_branch .LBB0_158
.LBB0_157:                              ;   in Loop: Header=BB0_158 Depth=3
	s_or_b64 exec, exec, s[78:79]
	s_and_b64 s[18:19], exec, s[20:21]
	s_or_b64 s[74:75], s[18:19], s[74:75]
	s_andn2_b64 s[18:19], s[72:73], exec
	s_and_b64 s[20:21], s[76:77], exec
	s_or_b64 s[72:73], s[18:19], s[20:21]
	s_andn2_b64 exec, exec, s[74:75]
	s_cbranch_execz .LBB0_162
.LBB0_158:                              ;   Parent Loop BB0_24 Depth=1
                                        ;     Parent Loop BB0_152 Depth=2
                                        ; =>    This Inner Loop Header: Depth=3
	global_load_dwordx4 v[17:20], v[44:45], off glc slc
	s_add_i32 s28, s28, 1
	s_mov_b64 s[20:21], -1
	s_cmpk_lg_i32 s28, 0x2710
	s_mov_b64 s[18:19], -1
                                        ; implicit-def: $vgpr9
	s_cbranch_scc0 .LBB0_160
; %bb.159:                              ;   in Loop: Header=BB0_158 Depth=3
	s_or_b64 s[76:77], s[76:77], exec
	s_and_saveexec_b64 s[78:79], s[18:19]
	s_cbranch_execz .LBB0_157
	s_branch .LBB0_161
.LBB0_160:                              ;   in Loop: Header=BB0_158 Depth=3
	s_trap 2
	ds_read_b64 v[25:26], v0
	s_mov_b32 s28, 0
	s_waitcnt vmcnt(0) lgkmcnt(0)
	flat_load_dword v9, v[25:26] glc
	s_waitcnt vmcnt(0) lgkmcnt(0)
	buffer_wbinvl1_vol
	v_cmp_eq_u32_e64 s[18:19], 0, v9
	s_orn2_b64 s[18:19], s[18:19], exec
	s_or_b64 s[76:77], s[76:77], exec
	s_and_saveexec_b64 s[78:79], s[18:19]
	s_cbranch_execz .LBB0_157
.LBB0_161:                              ;   in Loop: Header=BB0_158 Depth=3
	s_waitcnt vmcnt(0)
	v_cmp_eq_u32_e64 s[18:19], v40, v18
	v_cmp_eq_u32_e64 s[20:21], v40, v20
	s_and_b64 s[18:19], s[18:19], s[20:21]
	s_andn2_b64 s[76:77], s[76:77], exec
	s_orn2_b64 s[20:21], s[18:19], exec
	s_branch .LBB0_157
.LBB0_162:                              ;   in Loop: Header=BB0_152 Depth=2
	s_or_b64 exec, exec, s[74:75]
	v_mov_b32_e32 v25, 0
	s_and_saveexec_b64 s[18:19], s[72:73]
	s_xor_b64 s[18:19], exec, s[18:19]
	s_cbranch_execz .LBB0_164
; %bb.163:                              ;   in Loop: Header=BB0_152 Depth=2
	v_mov_b32_e32 v25, 1
	ds_write_b32 v0, v9
	s_trap 2
.LBB0_164:                              ;   in Loop: Header=BB0_152 Depth=2
	s_or_b64 exec, exec, s[18:19]
.LBB0_165:                              ;   in Loop: Header=BB0_152 Depth=2
	s_or_b64 exec, exec, s[62:63]
.LBB0_166:                              ;   in Loop: Header=BB0_152 Depth=2
	s_or_b64 exec, exec, s[60:61]
	s_waitcnt vmcnt(0)
	v_mad_u64_u32 v[18:19], s[18:19], v10, v27, v[19:20]
	v_mad_u64_u32 v[19:20], s[18:19], v0, v27, v[17:18]
	v_cmp_ne_u32_e64 s[18:19], 1, v34
	s_and_b64 s[18:19], s[16:17], s[18:19]
	v_cndmask_b32_e64 v0, 0, 1, s[18:19]
	v_cmp_ne_u32_e64 s[18:19], 0, v0
	s_cmp_lg_u64 s[18:19], exec
	s_mov_b64 s[18:19], -1
	s_cbranch_scc0 .LBB0_170
; %bb.167:                              ;   in Loop: Header=BB0_152 Depth=2
	flat_store_dword v[30:31], v19
	s_and_saveexec_b64 s[18:19], vcc
	s_cbranch_execz .LBB0_169
; %bb.168:                              ;   in Loop: Header=BB0_152 Depth=2
	flat_store_dword v[30:31], v18 offset:4
.LBB0_169:                              ;   in Loop: Header=BB0_152 Depth=2
	s_or_b64 exec, exec, s[18:19]
	s_mov_b64 s[18:19], 0
.LBB0_170:                              ;   in Loop: Header=BB0_152 Depth=2
	s_andn2_b64 vcc, exec, s[18:19]
	s_cbranch_vccnz .LBB0_151
; %bb.171:                              ;   in Loop: Header=BB0_152 Depth=2
	v_mov_b32_e32 v20, v18
	global_store_dwordx2 v[30:31], v[19:20], off
	s_branch .LBB0_151
.LBB0_172:                              ;   in Loop: Header=BB0_24 Depth=1
	s_or_b64 exec, exec, s[58:59]
	buffer_load_dword v50, off, s[0:3], s32 offset:112 ; 4-byte Folded Reload
	buffer_load_dword v51, off, s[0:3], s32 offset:116 ; 4-byte Folded Reload
.LBB0_173:                              ;   in Loop: Header=BB0_24 Depth=1
	s_or_b64 exec, exec, s[56:57]
	buffer_load_dword v7, off, s[0:3], s32 offset:88 ; 4-byte Folded Reload
	buffer_load_dword v8, off, s[0:3], s32 offset:92 ; 4-byte Folded Reload
	;; [unrolled: 1-line block ×4, first 2 shown]
	s_and_saveexec_b64 s[18:19], s[10:11]
	s_cbranch_execz .LBB0_192
; %bb.174:                              ;   in Loop: Header=BB0_24 Depth=1
	s_and_saveexec_b64 s[20:21], s[42:43]
	s_xor_b64 s[20:21], exec, s[20:21]
	s_cbranch_execz .LBB0_189
; %bb.175:                              ;   in Loop: Header=BB0_24 Depth=1
	s_and_saveexec_b64 s[56:57], s[12:13]
	s_cbranch_execz .LBB0_188
; %bb.176:                              ;   in Loop: Header=BB0_24 Depth=1
	s_mov_b64 s[60:61], exec
	v_mbcnt_lo_u32_b32 v0, s60, 0
	v_mbcnt_hi_u32_b32 v0, s61, v0
	v_cmp_eq_u32_e32 vcc, 0, v0
	s_waitcnt vmcnt(0) lgkmcnt(0)
	buffer_wbinvl1_vol
	s_and_saveexec_b64 s[58:59], vcc
	s_cbranch_execz .LBB0_178
; %bb.177:                              ;   in Loop: Header=BB0_24 Depth=1
	s_bcnt1_i32_b64 s28, s[60:61]
	v_mov_b32_e32 v2, s28
	ds_add_u64 v0, v[2:3]
	s_trap 2
.LBB0_178:                              ;   in Loop: Header=BB0_24 Depth=1
	s_or_b64 exec, exec, s[58:59]
	s_trap 2
	ds_read_b64 v[7:8], v0
	s_waitcnt lgkmcnt(0)
	buffer_load_dword v0, off, s[0:3], s32 offset:84 ; 4-byte Folded Reload
	s_waitcnt vmcnt(0)
	v_add_co_u32_e32 v60, vcc, v60, v0
	v_addc_co_u32_e32 v61, vcc, 0, v61, vcc
	v_cmp_lt_u64_e32 vcc, v[7:8], v[60:61]
	s_and_saveexec_b64 s[58:59], vcc
	s_cbranch_execz .LBB0_187
; %bb.179:                              ;   in Loop: Header=BB0_24 Depth=1
	s_mov_b32 s28, 0
	s_mov_b64 s[60:61], 0
                                        ; implicit-def: $sgpr62_sgpr63
                                        ; implicit-def: $sgpr72_sgpr73
	s_branch .LBB0_181
.LBB0_180:                              ;   in Loop: Header=BB0_181 Depth=2
	s_or_b64 exec, exec, s[76:77]
	s_and_b64 s[74:75], exec, s[78:79]
	s_or_b64 s[60:61], s[74:75], s[60:61]
	s_andn2_b64 s[62:63], s[62:63], exec
	s_and_b64 s[74:75], s[72:73], exec
	s_or_b64 s[62:63], s[62:63], s[74:75]
	s_andn2_b64 exec, exec, s[60:61]
	s_cbranch_execz .LBB0_185
.LBB0_181:                              ;   Parent Loop BB0_24 Depth=1
                                        ; =>  This Inner Loop Header: Depth=2
	s_add_i32 s28, s28, 1
	s_cmpk_lg_i32 s28, 0x2710
	s_cselect_b64 s[74:75], -1, 0
	s_and_b64 vcc, exec, s[74:75]
	s_cbranch_vccz .LBB0_183
; %bb.182:                              ;   in Loop: Header=BB0_181 Depth=2
	s_mov_b64 s[78:79], -1
	s_or_b64 s[72:73], s[72:73], exec
	s_and_saveexec_b64 s[76:77], s[74:75]
	s_cbranch_execz .LBB0_180
	s_branch .LBB0_184
.LBB0_183:                              ;   in Loop: Header=BB0_181 Depth=2
	s_trap 2
	ds_read_b64 v[7:8], v0
	s_andn2_b64 s[74:75], s[74:75], exec
	s_mov_b32 s28, 0
	s_waitcnt lgkmcnt(0)
	flat_load_dword v0, v[7:8] glc
	s_waitcnt vmcnt(0) lgkmcnt(0)
	buffer_wbinvl1_vol
	v_cmp_eq_u32_e32 vcc, 0, v0
	s_and_b64 s[76:77], vcc, exec
	s_or_b64 s[74:75], s[74:75], s[76:77]
	s_mov_b64 s[78:79], -1
	s_or_b64 s[72:73], s[72:73], exec
	s_and_saveexec_b64 s[76:77], s[74:75]
	s_cbranch_execz .LBB0_180
.LBB0_184:                              ;   in Loop: Header=BB0_181 Depth=2
	s_sleep 1
	s_trap 2
	ds_read_b64 v[7:8], v0
	s_waitcnt lgkmcnt(0)
	s_andn2_b64 s[72:73], s[72:73], exec
	v_cmp_ge_u64_e32 vcc, v[7:8], v[60:61]
	s_orn2_b64 s[78:79], vcc, exec
	s_branch .LBB0_180
.LBB0_185:                              ;   in Loop: Header=BB0_24 Depth=1
	s_or_b64 exec, exec, s[60:61]
	s_and_saveexec_b64 s[60:61], s[62:63]
	s_xor_b64 s[60:61], exec, s[60:61]
	s_cbranch_execz .LBB0_187
; %bb.186:                              ;   in Loop: Header=BB0_24 Depth=1
	v_mov_b32_e32 v0, 1
	ds_write_b32 v0, v0
	s_trap 2
.LBB0_187:                              ;   in Loop: Header=BB0_24 Depth=1
	s_or_b64 exec, exec, s[58:59]
	;;#ASMSTART
	s_wakeup
	;;#ASMEND
.LBB0_188:                              ;   in Loop: Header=BB0_24 Depth=1
	s_or_b64 exec, exec, s[56:57]
.LBB0_189:                              ;   in Loop: Header=BB0_24 Depth=1
	s_andn2_saveexec_b64 s[20:21], s[20:21]
	s_cbranch_execz .LBB0_191
; %bb.190:                              ;   in Loop: Header=BB0_24 Depth=1
	s_waitcnt vmcnt(0) lgkmcnt(0)
	buffer_wbinvl1_vol
	s_barrier
.LBB0_191:                              ;   in Loop: Header=BB0_24 Depth=1
	s_or_b64 exec, exec, s[20:21]
.LBB0_192:                              ;   in Loop: Header=BB0_24 Depth=1
	s_or_b64 exec, exec, s[18:19]
	s_and_saveexec_b64 s[18:19], s[14:15]
	s_cbranch_execz .LBB0_23
; %bb.193:                              ;   in Loop: Header=BB0_24 Depth=1
	buffer_load_dword v7, off, s[0:3], s32 offset:64 ; 4-byte Folded Reload
	buffer_load_dword v8, off, s[0:3], s32 offset:68 ; 4-byte Folded Reload
	v_add_co_u32_e32 v48, vcc, 1, v48
	v_addc_co_u32_e32 v49, vcc, 0, v49, vcc
	s_waitcnt vmcnt(0)
	flat_store_dwordx2 v[7:8], v[48:49]
	s_branch .LBB0_23
.LBB0_194:
	s_or_b64 exec, exec, s[40:41]
	buffer_load_dword v31, off, s[0:3], s32 offset:196 ; 4-byte Folded Reload
	buffer_load_dword v11, off, s[0:3], s32 offset:200 ; 4-byte Folded Reload
	;; [unrolled: 1-line block ×6, first 2 shown]
	s_or_b64 exec, exec, s[26:27]
	s_and_saveexec_b64 s[6:7], s[24:25]
	s_cbranch_execz .LBB0_20
.LBB0_195:
	s_waitcnt vmcnt(0) lgkmcnt(0)
	flat_store_dwordx2 v[25:26], v[48:49] offset:104
	s_or_b64 exec, exec, s[6:7]
	s_and_saveexec_b64 s[6:7], s[4:5]
	s_cbranch_execz .LBB0_21
.LBB0_196:
	s_waitcnt vmcnt(0) lgkmcnt(0)
	flat_store_dwordx2 v[9:10], v[15:16] offset:104
	s_or_b64 exec, exec, s[6:7]
	v_cmp_ne_u32_e32 vcc, 64, v1
	s_and_saveexec_b64 s[4:5], vcc
	s_cbranch_execz .LBB0_214
.LBB0_197:
	s_waitcnt vmcnt(0)
	v_cmp_ne_u32_sdwa s[6:7], v1, v11 src0_sel:DWORD src1_sel:WORD_0
	s_and_saveexec_b64 s[8:9], s[6:7]
	s_xor_b64 s[6:7], exec, s[8:9]
	s_cbranch_execz .LBB0_212
; %bb.198:
	v_and_b32_e32 v0, 63, v31
	v_cmp_eq_u32_e32 vcc, 0, v0
	s_and_saveexec_b64 s[8:9], vcc
	s_cbranch_execz .LBB0_211
; %bb.199:
	s_mov_b64 s[12:13], exec
	v_mbcnt_lo_u32_b32 v0, s12, 0
	v_mbcnt_hi_u32_b32 v0, s13, v0
	v_cmp_eq_u32_e32 vcc, 0, v0
	s_waitcnt lgkmcnt(0)
	buffer_wbinvl1_vol
	s_and_saveexec_b64 s[10:11], vcc
	s_cbranch_execz .LBB0_201
; %bb.200:
	s_bcnt1_i32_b64 s12, s[12:13]
	v_mov_b32_e32 v2, s12
	v_mov_b32_e32 v3, 0
	ds_add_u64 v0, v[2:3]
	s_trap 2
.LBB0_201:
	s_or_b64 exec, exec, s[10:11]
	v_lshrrev_b32_e32 v0, 6, v1
	s_trap 2
	ds_read_b64 v[2:3], v0
	s_waitcnt lgkmcnt(0)
	v_add_co_u32_e32 v0, vcc, v60, v0
	v_addc_co_u32_e32 v1, vcc, 0, v61, vcc
	v_cmp_lt_u64_e32 vcc, v[2:3], v[0:1]
	s_and_saveexec_b64 s[10:11], vcc
	s_cbranch_execz .LBB0_210
; %bb.202:
	s_mov_b32 s24, 0
	s_mov_b64 s[12:13], 0
                                        ; implicit-def: $sgpr14_sgpr15
                                        ; implicit-def: $sgpr16_sgpr17
	s_branch .LBB0_204
.LBB0_203:                              ;   in Loop: Header=BB0_204 Depth=1
	s_or_b64 exec, exec, s[20:21]
	s_and_b64 s[18:19], exec, s[22:23]
	s_or_b64 s[12:13], s[18:19], s[12:13]
	s_andn2_b64 s[14:15], s[14:15], exec
	s_and_b64 s[18:19], s[16:17], exec
	s_or_b64 s[14:15], s[14:15], s[18:19]
	s_andn2_b64 exec, exec, s[12:13]
	s_cbranch_execz .LBB0_208
.LBB0_204:                              ; =>This Inner Loop Header: Depth=1
	s_add_i32 s24, s24, 1
	s_cmpk_lg_i32 s24, 0x2710
	s_cselect_b64 s[18:19], -1, 0
	s_and_b64 vcc, exec, s[18:19]
	s_cbranch_vccz .LBB0_206
; %bb.205:                              ;   in Loop: Header=BB0_204 Depth=1
	s_mov_b64 s[22:23], -1
	s_or_b64 s[16:17], s[16:17], exec
	s_and_saveexec_b64 s[20:21], s[18:19]
	s_cbranch_execz .LBB0_203
	s_branch .LBB0_207
.LBB0_206:                              ;   in Loop: Header=BB0_204 Depth=1
	s_trap 2
	ds_read_b64 v[2:3], v0
	s_andn2_b64 s[18:19], s[18:19], exec
	s_mov_b32 s24, 0
	s_waitcnt lgkmcnt(0)
	flat_load_dword v2, v[2:3] glc
	s_waitcnt vmcnt(0) lgkmcnt(0)
	buffer_wbinvl1_vol
	v_cmp_eq_u32_e32 vcc, 0, v2
	s_and_b64 s[20:21], vcc, exec
	s_or_b64 s[18:19], s[18:19], s[20:21]
	s_mov_b64 s[22:23], -1
	s_or_b64 s[16:17], s[16:17], exec
	s_and_saveexec_b64 s[20:21], s[18:19]
	s_cbranch_execz .LBB0_203
.LBB0_207:                              ;   in Loop: Header=BB0_204 Depth=1
	s_sleep 1
	s_trap 2
	ds_read_b64 v[2:3], v0
	s_waitcnt lgkmcnt(0)
	s_andn2_b64 s[16:17], s[16:17], exec
	v_cmp_ge_u64_e32 vcc, v[2:3], v[0:1]
	s_orn2_b64 s[22:23], vcc, exec
	s_branch .LBB0_203
.LBB0_208:
	s_or_b64 exec, exec, s[12:13]
	s_and_saveexec_b64 s[12:13], s[14:15]
	s_xor_b64 s[12:13], exec, s[12:13]
	s_cbranch_execz .LBB0_210
; %bb.209:
	v_mov_b32_e32 v0, 1
	ds_write_b32 v0, v0
	s_trap 2
.LBB0_210:
	s_or_b64 exec, exec, s[10:11]
	;;#ASMSTART
	s_wakeup
	;;#ASMEND
.LBB0_211:
	s_or_b64 exec, exec, s[8:9]
.LBB0_212:
	s_andn2_saveexec_b64 s[6:7], s[6:7]
	s_cbranch_execz .LBB0_214
; %bb.213:
	s_waitcnt lgkmcnt(0)
	buffer_wbinvl1_vol
	s_barrier
.LBB0_214:
	s_or_b64 exec, exec, s[4:5]
	buffer_load_dword v63, off, s[0:3], s32 ; 4-byte Folded Reload
	buffer_load_dword v62, off, s[0:3], s32 offset:4 ; 4-byte Folded Reload
	buffer_load_dword v61, off, s[0:3], s32 offset:8 ; 4-byte Folded Reload
	;; [unrolled: 1-line block ×15, first 2 shown]
	s_waitcnt vmcnt(0) lgkmcnt(0)
	s_setpc_b64 s[30:31]
.Lfunc_end0:
	.size	_ZN12_GLOBAL__N_17runRingIj13FuncPreMulSumIjE7ProtoLLLi0ELi1ELi0EEEviiP15ncclDevWorkColl, .Lfunc_end0-_ZN12_GLOBAL__N_17runRingIj13FuncPreMulSumIjE7ProtoLLLi0ELi1ELi0EEEviiP15ncclDevWorkColl
                                        ; -- End function
	.set .L_ZN12_GLOBAL__N_17runRingIj13FuncPreMulSumIjE7ProtoLLLi0ELi1ELi0EEEviiP15ncclDevWorkColl.num_vgpr, 64
	.set .L_ZN12_GLOBAL__N_17runRingIj13FuncPreMulSumIjE7ProtoLLLi0ELi1ELi0EEEviiP15ncclDevWorkColl.num_agpr, 0
	.set .L_ZN12_GLOBAL__N_17runRingIj13FuncPreMulSumIjE7ProtoLLLi0ELi1ELi0EEEviiP15ncclDevWorkColl.numbered_sgpr, 96
	.set .L_ZN12_GLOBAL__N_17runRingIj13FuncPreMulSumIjE7ProtoLLLi0ELi1ELi0EEEviiP15ncclDevWorkColl.num_named_barrier, 0
	.set .L_ZN12_GLOBAL__N_17runRingIj13FuncPreMulSumIjE7ProtoLLLi0ELi1ELi0EEEviiP15ncclDevWorkColl.private_seg_size, 224
	.set .L_ZN12_GLOBAL__N_17runRingIj13FuncPreMulSumIjE7ProtoLLLi0ELi1ELi0EEEviiP15ncclDevWorkColl.uses_vcc, 1
	.set .L_ZN12_GLOBAL__N_17runRingIj13FuncPreMulSumIjE7ProtoLLLi0ELi1ELi0EEEviiP15ncclDevWorkColl.uses_flat_scratch, 0
	.set .L_ZN12_GLOBAL__N_17runRingIj13FuncPreMulSumIjE7ProtoLLLi0ELi1ELi0EEEviiP15ncclDevWorkColl.has_dyn_sized_stack, 0
	.set .L_ZN12_GLOBAL__N_17runRingIj13FuncPreMulSumIjE7ProtoLLLi0ELi1ELi0EEEviiP15ncclDevWorkColl.has_recursion, 0
	.set .L_ZN12_GLOBAL__N_17runRingIj13FuncPreMulSumIjE7ProtoLLLi0ELi1ELi0EEEviiP15ncclDevWorkColl.has_indirect_call, 0
	.section	.AMDGPU.csdata,"",@progbits
; Function info:
; codeLenInByte = 7852
; TotalNumSgprs: 100
; NumVgprs: 64
; ScratchSize: 224
; MemoryBound: 0
	.text
	.p2align	2                               ; -- Begin function _Z53ncclDevFunc_ReduceScatter_RING_LL_PreMulSum_u32_0_0_1v
	.type	_Z53ncclDevFunc_ReduceScatter_RING_LL_PreMulSum_u32_0_0_1v,@function
_Z53ncclDevFunc_ReduceScatter_RING_LL_PreMulSum_u32_0_0_1v: ; @_Z53ncclDevFunc_ReduceScatter_RING_LL_PreMulSum_u32_0_0_1v
; %bb.0:
	s_waitcnt vmcnt(0) expcnt(0) lgkmcnt(0)
	s_mov_b32 s4, s33
	s_mov_b32 s33, s32
	s_or_saveexec_b64 s[6:7], -1
	buffer_store_dword v43, off, s[0:3], s33 offset:12 ; 4-byte Folded Spill
	s_mov_b64 exec, s[6:7]
	v_writelane_b32 v43, s4, 8
	s_addk_i32 s32, 0x800
	buffer_store_dword v40, off, s[0:3], s33 offset:8 ; 4-byte Folded Spill
	buffer_store_dword v41, off, s[0:3], s33 offset:4 ; 4-byte Folded Spill
	buffer_store_dword v42, off, s[0:3], s33 ; 4-byte Folded Spill
	v_writelane_b32 v43, s34, 0
	v_writelane_b32 v43, s35, 1
	;; [unrolled: 1-line block ×8, first 2 shown]
	s_trap 2
	ds_read_b32 v2, v0
	v_mov_b32_e32 v40, v31
	v_and_b32_e32 v41, 0x3ff, v40
	s_mov_b32 s36, s12
	s_mov_b64 s[34:35], s[8:9]
	s_waitcnt lgkmcnt(0)
	v_cmp_lt_i32_e32 vcc, v41, v2
	s_and_saveexec_b64 s[4:5], vcc
	s_cbranch_execz .LBB1_5
; %bb.1:
	s_load_dword s6, s[34:35], 0x0
	v_mov_b32_e32 v1, 0
	v_mov_b32_e32 v6, v41
                                        ; implicit-def: $vgpr5
	s_waitcnt lgkmcnt(0)
	s_cmp_lt_u32 s36, s6
	s_cselect_b32 s6, 12, 18
	s_add_u32 s6, s34, s6
	s_addc_u32 s7, s35, 0
	global_load_ushort v3, v1, s[6:7]
	s_trap 2
	ds_read_b32 v0, v0
	s_mov_b64 s[6:7], 0
	s_waitcnt vmcnt(0) lgkmcnt(0)
	v_mul_lo_u32 v4, v0, v3
	s_branch .LBB1_3
.LBB1_2:                                ;   in Loop: Header=BB1_3 Depth=1
	s_or_b64 exec, exec, s[8:9]
	v_add_u32_e32 v6, v6, v3
	v_cmp_ge_i32_e32 vcc, v6, v2
	s_or_b64 s[6:7], vcc, s[6:7]
	v_add_u32_e32 v5, v5, v4
	s_andn2_b64 exec, exec, s[6:7]
	s_cbranch_execz .LBB1_5
.LBB1_3:                                ; =>This Inner Loop Header: Depth=1
	ds_read_b32 v0, v5
	s_waitcnt lgkmcnt(0)
	v_and_b32_e32 v0, 0x1000000, v0
	v_cmp_ne_u32_e32 vcc, 0, v0
	s_and_saveexec_b64 s[8:9], vcc
	s_cbranch_execz .LBB1_2
; %bb.4:                                ;   in Loop: Header=BB1_3 Depth=1
	ds_read_b64 v[7:8], v5 offset:104
	s_waitcnt lgkmcnt(0)
	flat_load_dword v0, v[7:8]
	s_waitcnt vmcnt(0) lgkmcnt(0)
	ds_write_b64 v5, v[0:1] offset:104
	s_branch .LBB1_2
.LBB1_5:
	s_or_b64 exec, exec, s[4:5]
	s_waitcnt vmcnt(0) lgkmcnt(0)
	s_barrier
	s_trap 2
	ds_read_b32 v0, v0
	s_waitcnt lgkmcnt(0)
	v_cmp_gt_i32_e32 vcc, 1, v0
	s_cbranch_vccnz .LBB1_13
; %bb.6:
	s_mov_b32 s37, 0
	v_mov_b32_e32 v42, 6
	s_branch .LBB1_8
.LBB1_7:                                ;   in Loop: Header=BB1_8 Depth=1
	s_or_b64 exec, exec, s[38:39]
	s_trap 2
	ds_read_b32 v0, v0
	s_add_i32 s37, s37, 1
	s_waitcnt lgkmcnt(0)
	v_cmp_lt_i32_e32 vcc, s37, v0
	s_cbranch_vccz .LBB1_13
.LBB1_8:                                ; =>This Inner Loop Header: Depth=1
	s_trap 2
	ds_read_b32 v0, v0
	s_cmp_eq_u32 s37, 0
	s_cbranch_scc1 .LBB1_11
; %bb.9:                                ;   in Loop: Header=BB1_8 Depth=1
	s_trap 2
	s_waitcnt lgkmcnt(0)
	ds_read_b32 v1, v0
	s_waitcnt lgkmcnt(0)
	v_xor_b32_e32 v1, v1, v0
	v_and_b32_e32 v1, 0xff0000, v1
	v_cmp_eq_u32_e32 vcc, 0, v1
	s_cbranch_vccnz .LBB1_11
; %bb.10:                               ;   in Loop: Header=BB1_8 Depth=1
	s_barrier
	ds_read_b32 v0, v0
.LBB1_11:                               ;   in Loop: Header=BB1_8 Depth=1
	s_waitcnt lgkmcnt(0)
	v_lshlrev_b32_sdwa v1, v42, v0 dst_sel:DWORD dst_unused:UNUSED_PAD src0_sel:DWORD src1_sel:BYTE_2
	v_cmp_lt_u32_e32 vcc, v41, v1
	s_and_saveexec_b64 s[38:39], vcc
	s_cbranch_execz .LBB1_7
; %bb.12:                               ;   in Loop: Header=BB1_8 Depth=1
	s_mov_b64 s[4:5], src_shared_base
	s_getpc_b64 s[6:7]
	s_add_u32 s6, s6, _ZN12_GLOBAL__N_17runRingIj13FuncPreMulSumIjE7ProtoLLLi0ELi1ELi0EEEviiP15ncclDevWorkColl@rel32@lo+4
	s_addc_u32 s7, s7, _ZN12_GLOBAL__N_17runRingIj13FuncPreMulSumIjE7ProtoLLLi0ELi1ELi0EEEviiP15ncclDevWorkColl@rel32@hi+12
	s_mov_b64 s[8:9], s[34:35]
	s_mov_b32 s12, s36
	v_mov_b32_e32 v31, v40
	v_mov_b32_e32 v0, v41
	;; [unrolled: 1-line block ×3, first 2 shown]
	s_swappc_b64 s[30:31], s[6:7]
	s_branch .LBB1_7
.LBB1_13:
	buffer_load_dword v42, off, s[0:3], s33 ; 4-byte Folded Reload
	buffer_load_dword v41, off, s[0:3], s33 offset:4 ; 4-byte Folded Reload
	buffer_load_dword v40, off, s[0:3], s33 offset:8 ; 4-byte Folded Reload
	v_readlane_b32 s30, v43, 6
	v_readlane_b32 s31, v43, 7
	;; [unrolled: 1-line block ×8, first 2 shown]
	s_mov_b32 s32, s33
	v_readlane_b32 s4, v43, 8
	s_or_saveexec_b64 s[6:7], -1
	buffer_load_dword v43, off, s[0:3], s33 offset:12 ; 4-byte Folded Reload
	s_mov_b64 exec, s[6:7]
	s_mov_b32 s33, s4
	s_waitcnt vmcnt(0)
	s_setpc_b64 s[30:31]
.Lfunc_end1:
	.size	_Z53ncclDevFunc_ReduceScatter_RING_LL_PreMulSum_u32_0_0_1v, .Lfunc_end1-_Z53ncclDevFunc_ReduceScatter_RING_LL_PreMulSum_u32_0_0_1v
                                        ; -- End function
	.set .L_Z53ncclDevFunc_ReduceScatter_RING_LL_PreMulSum_u32_0_0_1v.num_vgpr, max(44, .L_ZN12_GLOBAL__N_17runRingIj13FuncPreMulSumIjE7ProtoLLLi0ELi1ELi0EEEviiP15ncclDevWorkColl.num_vgpr)
	.set .L_Z53ncclDevFunc_ReduceScatter_RING_LL_PreMulSum_u32_0_0_1v.num_agpr, max(0, .L_ZN12_GLOBAL__N_17runRingIj13FuncPreMulSumIjE7ProtoLLLi0ELi1ELi0EEEviiP15ncclDevWorkColl.num_agpr)
	.set .L_Z53ncclDevFunc_ReduceScatter_RING_LL_PreMulSum_u32_0_0_1v.numbered_sgpr, max(40, .L_ZN12_GLOBAL__N_17runRingIj13FuncPreMulSumIjE7ProtoLLLi0ELi1ELi0EEEviiP15ncclDevWorkColl.numbered_sgpr)
	.set .L_Z53ncclDevFunc_ReduceScatter_RING_LL_PreMulSum_u32_0_0_1v.num_named_barrier, max(0, .L_ZN12_GLOBAL__N_17runRingIj13FuncPreMulSumIjE7ProtoLLLi0ELi1ELi0EEEviiP15ncclDevWorkColl.num_named_barrier)
	.set .L_Z53ncclDevFunc_ReduceScatter_RING_LL_PreMulSum_u32_0_0_1v.private_seg_size, 32+max(.L_ZN12_GLOBAL__N_17runRingIj13FuncPreMulSumIjE7ProtoLLLi0ELi1ELi0EEEviiP15ncclDevWorkColl.private_seg_size)
	.set .L_Z53ncclDevFunc_ReduceScatter_RING_LL_PreMulSum_u32_0_0_1v.uses_vcc, or(1, .L_ZN12_GLOBAL__N_17runRingIj13FuncPreMulSumIjE7ProtoLLLi0ELi1ELi0EEEviiP15ncclDevWorkColl.uses_vcc)
	.set .L_Z53ncclDevFunc_ReduceScatter_RING_LL_PreMulSum_u32_0_0_1v.uses_flat_scratch, or(0, .L_ZN12_GLOBAL__N_17runRingIj13FuncPreMulSumIjE7ProtoLLLi0ELi1ELi0EEEviiP15ncclDevWorkColl.uses_flat_scratch)
	.set .L_Z53ncclDevFunc_ReduceScatter_RING_LL_PreMulSum_u32_0_0_1v.has_dyn_sized_stack, or(0, .L_ZN12_GLOBAL__N_17runRingIj13FuncPreMulSumIjE7ProtoLLLi0ELi1ELi0EEEviiP15ncclDevWorkColl.has_dyn_sized_stack)
	.set .L_Z53ncclDevFunc_ReduceScatter_RING_LL_PreMulSum_u32_0_0_1v.has_recursion, or(1, .L_ZN12_GLOBAL__N_17runRingIj13FuncPreMulSumIjE7ProtoLLLi0ELi1ELi0EEEviiP15ncclDevWorkColl.has_recursion)
	.set .L_Z53ncclDevFunc_ReduceScatter_RING_LL_PreMulSum_u32_0_0_1v.has_indirect_call, or(0, .L_ZN12_GLOBAL__N_17runRingIj13FuncPreMulSumIjE7ProtoLLLi0ELi1ELi0EEEviiP15ncclDevWorkColl.has_indirect_call)
	.section	.AMDGPU.csdata,"",@progbits
; Function info:
; codeLenInByte = 704
; TotalNumSgprs: 100
; NumVgprs: 64
; ScratchSize: 256
; MemoryBound: 0
	.text
	.p2align	2                               ; -- Begin function _ZN12_GLOBAL__N_17runRingIj13FuncPreMulSumIjE7ProtoLLLi0ELi2ELi0EEEviiP15ncclDevWorkColl
	.type	_ZN12_GLOBAL__N_17runRingIj13FuncPreMulSumIjE7ProtoLLLi0ELi2ELi0EEEviiP15ncclDevWorkColl,@function
_ZN12_GLOBAL__N_17runRingIj13FuncPreMulSumIjE7ProtoLLLi0ELi2ELi0EEEviiP15ncclDevWorkColl: ; @_ZN12_GLOBAL__N_17runRingIj13FuncPreMulSumIjE7ProtoLLLi0ELi2ELi0EEEviiP15ncclDevWorkColl
; %bb.0:
	s_waitcnt vmcnt(0) expcnt(0) lgkmcnt(0)
	buffer_store_dword v40, off, s[0:3], s32 offset:60 ; 4-byte Folded Spill
	buffer_store_dword v41, off, s[0:3], s32 offset:56 ; 4-byte Folded Spill
	;; [unrolled: 1-line block ×15, first 2 shown]
	buffer_store_dword v63, off, s[0:3], s32 ; 4-byte Folded Spill
	s_trap 2
	flat_load_dword v7, v[2:3]
	flat_load_dwordx4 v[10:13], v[2:3] offset:72
	flat_load_dwordx2 v[19:20], v[2:3] offset:88
	v_mov_b32_e32 v4, v0
	ds_read_b32 v5, v0
                                        ; implicit-def: $vgpr17_vgpr18
	s_waitcnt lgkmcnt(0)
	v_readfirstlane_b32 s22, v5
	s_waitcnt vmcnt(0)
	v_not_b32_sdwa v6, v7 dst_sel:DWORD dst_unused:UNUSED_PAD src0_sel:BYTE_0
	v_add_u32_sdwa v0, v7, v6 dst_sel:DWORD dst_unused:UNUSED_PAD src0_sel:BYTE_1 src1_sel:DWORD
	v_mul_lo_u32 v9, v13, v0
	v_mad_u64_u32 v[29:30], s[4:5], v12, v0, 0
	buffer_store_dword v10, off, s[0:3], s32 offset:88 ; 4-byte Folded Spill
	s_nop 0
	buffer_store_dword v11, off, s[0:3], s32 offset:92 ; 4-byte Folded Spill
	buffer_store_dword v12, off, s[0:3], s32 offset:96 ; 4-byte Folded Spill
	;; [unrolled: 1-line block ×3, first 2 shown]
	v_ashrrev_i32_e32 v8, 31, v0
	v_cmp_ne_u32_sdwa s[4:5], v5, v7 src0_sel:DWORD src1_sel:BYTE_0
	v_mul_lo_u32 v0, v12, v8
	ds_read_b64 v[23:24], v0
	v_add3_u32 v0, v30, v0, v9
                                        ; implicit-def: $vgpr8_vgpr9
                                        ; kill: killed $vgpr8_vgpr9
	s_and_saveexec_b64 s[6:7], s[4:5]
	s_xor_b64 s[4:5], exec, s[6:7]
	s_cbranch_execz .LBB2_6
; %bb.1:
	v_cmp_ne_u32_sdwa s[6:7], v5, v7 src0_sel:DWORD src1_sel:BYTE_1
                                        ; implicit-def: $vgpr17_vgpr18
                                        ; implicit-def: $vgpr7_vgpr8
                                        ; kill: killed $vgpr7_vgpr8
	s_and_saveexec_b64 s[10:11], s[6:7]
	s_xor_b64 s[6:7], exec, s[10:11]
	s_cbranch_execz .LBB2_3
; %bb.2:
	flat_load_dwordx2 v[7:8], v[2:3] offset:96
	buffer_load_dword v10, off, s[0:3], s32 offset:88 ; 4-byte Folded Reload
	buffer_load_dword v11, off, s[0:3], s32 offset:92 ; 4-byte Folded Reload
	;; [unrolled: 1-line block ×4, first 2 shown]
	v_add_u32_e32 v5, v5, v6
	v_ashrrev_i32_e32 v6, 31, v5
	s_waitcnt vmcnt(0)
	v_mul_lo_u32 v6, v12, v6
	v_mul_lo_u32 v9, v13, v5
	v_mad_u64_u32 v[10:11], s[10:11], v12, v5, v[10:11]
	s_waitcnt lgkmcnt(0)
	v_lshrrev_b64 v[17:18], 19, v[7:8]
	v_add3_u32 v11, v9, v11, v6
	buffer_store_dword v10, off, s[0:3], s32 offset:104 ; 4-byte Folded Spill
	s_nop 0
	buffer_store_dword v11, off, s[0:3], s32 offset:108 ; 4-byte Folded Spill
.LBB2_3:
	s_andn2_saveexec_b64 s[6:7], s[6:7]
	s_cbranch_execz .LBB2_5
; %bb.4:
	flat_load_dword v5, v[2:3] offset:100
	buffer_load_dword v6, off, s[0:3], s32 offset:88 ; 4-byte Folded Reload
	buffer_load_dword v7, off, s[0:3], s32 offset:92 ; 4-byte Folded Reload
	buffer_load_dword v8, off, s[0:3], s32 offset:96 ; 4-byte Folded Reload
	buffer_load_dword v9, off, s[0:3], s32 offset:100 ; 4-byte Folded Reload
	s_waitcnt vmcnt(0)
	v_add_co_u32_e32 v8, vcc, v29, v6
	v_addc_co_u32_e32 v9, vcc, v0, v7, vcc
	buffer_store_dword v8, off, s[0:3], s32 offset:104 ; 4-byte Folded Spill
	s_nop 0
	buffer_store_dword v9, off, s[0:3], s32 offset:108 ; 4-byte Folded Spill
	v_mov_b32_e32 v8, v19
	s_waitcnt lgkmcnt(0)
	v_lshrrev_b32_e32 v17, 8, v5
	v_mov_b32_e32 v9, v20
	buffer_store_dword v6, off, s[0:3], s32 offset:88 ; 4-byte Folded Spill
	s_nop 0
	buffer_store_dword v7, off, s[0:3], s32 offset:92 ; 4-byte Folded Spill
	buffer_store_dword v8, off, s[0:3], s32 offset:96 ; 4-byte Folded Spill
	buffer_store_dword v9, off, s[0:3], s32 offset:100 ; 4-byte Folded Spill
.LBB2_5:
	s_or_b64 exec, exec, s[6:7]
.LBB2_6:
	s_andn2_saveexec_b64 s[4:5], s[4:5]
	s_cbranch_execz .LBB2_8
; %bb.7:
	flat_load_dwordx2 v[5:6], v[2:3] offset:96
	s_waitcnt vmcnt(0) lgkmcnt(0)
	v_lshlrev_b64 v[17:18], 2, v[5:6]
	v_mov_b32_e32 v5, 0
	v_mov_b32_e32 v6, 0
	buffer_store_dword v5, off, s[0:3], s32 offset:104 ; 4-byte Folded Spill
	s_nop 0
	buffer_store_dword v6, off, s[0:3], s32 offset:108 ; 4-byte Folded Spill
	buffer_load_dword v5, off, s[0:3], s32 offset:88 ; 4-byte Folded Reload
	s_nop 0
	buffer_load_dword v6, off, s[0:3], s32 offset:92 ; 4-byte Folded Reload
	buffer_load_dword v7, off, s[0:3], s32 offset:96 ; 4-byte Folded Reload
	buffer_load_dword v8, off, s[0:3], s32 offset:100 ; 4-byte Folded Reload
	s_waitcnt vmcnt(0)
	v_mov_b32_e32 v8, v6
	v_mov_b32_e32 v7, v5
	buffer_store_dword v5, off, s[0:3], s32 offset:88 ; 4-byte Folded Spill
	s_nop 0
	buffer_store_dword v6, off, s[0:3], s32 offset:92 ; 4-byte Folded Spill
	buffer_store_dword v7, off, s[0:3], s32 offset:96 ; 4-byte Folded Spill
	;; [unrolled: 1-line block ×3, first 2 shown]
.LBB2_8:
	s_or_b64 exec, exec, s[4:5]
	flat_load_dwordx2 v[27:28], v[2:3] offset:104
	flat_load_ushort v6, v[2:3] offset:8
	flat_load_dword v5, v[2:3] offset:4
	flat_load_dwordx4 v[7:10], v[2:3] offset:16
	s_load_dword s4, s[8:9], 0x0
	v_mov_b32_e32 v3, 0
	s_mov_b32 s6, 0
	s_waitcnt vmcnt(0) lgkmcnt(0)
	buffer_store_dword v7, off, s[0:3], s32 offset:144 ; 4-byte Folded Spill
	s_nop 0
	buffer_store_dword v8, off, s[0:3], s32 offset:148 ; 4-byte Folded Spill
	buffer_store_dword v9, off, s[0:3], s32 offset:152 ; 4-byte Folded Spill
	;; [unrolled: 1-line block ×3, first 2 shown]
	s_cmp_lt_u32 s12, s4
	s_cselect_b32 s4, 12, 18
	s_add_u32 s4, s8, s4
	s_addc_u32 s5, s9, 0
	global_load_ushort v11, v3, s[4:5]
	s_trap 2
	ds_read_b32 v2, v0
	v_lshrrev_b64 v[5:6], 31, v[5:6]
	v_mov_b32_e32 v9, 0
	v_and_b32_e32 v6, 3, v5
	v_and_b32_e32 v5, 63, v4
	s_waitcnt lgkmcnt(0)
	v_cmp_gt_i32_e32 vcc, 0, v2
	v_readfirstlane_b32 s8, v2
	v_mov_b32_e32 v10, 0
	v_cmp_eq_u32_e64 s[4:5], 0, v5
	s_cbranch_vccnz .LBB2_10
; %bb.9:
	s_trap 2
	ds_read_b64 v[7:8], v0
	v_lshlrev_b64 v[2:3], 3, v[2:3]
	s_movk_i32 s6, 0xa8
	s_waitcnt lgkmcnt(0)
	v_add_co_u32_e32 v2, vcc, v7, v2
	v_addc_co_u32_e32 v3, vcc, v8, v3, vcc
	flat_load_dwordx2 v[2:3], v[2:3]
	v_and_b32_e32 v7, 0xffff, v6
	s_waitcnt vmcnt(0) lgkmcnt(0)
	v_mad_u64_u32 v[2:3], s[6:7], v7, s6, v[2:3]
	s_mov_b32 s6, 1
	flat_load_dwordx2 v[7:8], v[2:3] offset:504
	v_add_co_u32_e32 v25, vcc, 0x1f8, v2
	v_addc_co_u32_e32 v26, vcc, 0, v3, vcc
	s_waitcnt vmcnt(0) lgkmcnt(0)
	buffer_store_dword v7, off, s[0:3], s32 offset:72 ; 4-byte Folded Spill
	s_nop 0
	buffer_store_dword v8, off, s[0:3], s32 offset:76 ; 4-byte Folded Spill
	flat_load_dwordx2 v[36:37], v[2:3] offset:608
	v_cndmask_b32_e64 v3, 0, v26, s[4:5]
	v_cndmask_b32_e64 v2, 0, v25, s[4:5]
	s_branch .LBB2_11
.LBB2_10:
	v_mov_b32_e32 v25, 0
	v_mov_b32_e32 v2, 0
	;; [unrolled: 1-line block ×4, first 2 shown]
                                        ; implicit-def: $vgpr36_vgpr37
                                        ; implicit-def: $vgpr7_vgpr8
                                        ; kill: killed $vgpr7_vgpr8
.LBB2_11:
	s_trap 2
	ds_read_b32 v13, v0
	s_waitcnt lgkmcnt(0)
	v_cmp_gt_i32_e32 vcc, 0, v13
	s_cbranch_vccnz .LBB2_13
; %bb.12:
	s_trap 2
	ds_read_b64 v[7:8], v0
	v_mov_b32_e32 v14, 0
	v_lshlrev_b64 v[9:10], 3, v[13:14]
	v_and_b32_e32 v6, 0xffff, v6
	s_movk_i32 s4, 0xa8
	s_waitcnt lgkmcnt(0)
	v_add_co_u32_e32 v7, vcc, v7, v9
	v_addc_co_u32_e32 v8, vcc, v8, v10, vcc
	flat_load_dwordx2 v[7:8], v[7:8]
	v_cmp_eq_u32_e32 vcc, 0, v5
	s_waitcnt vmcnt(0) lgkmcnt(0)
	v_mad_u64_u32 v[9:10], s[4:5], v6, s4, v[7:8]
	flat_load_dwordx2 v[38:39], v[9:10]
	flat_load_dwordx2 v[21:22], v[9:10] offset:104
	v_cndmask_b32_e32 v16, 0, v10, vcc
	v_cndmask_b32_e32 v15, 0, v9, vcc
	s_branch .LBB2_14
.LBB2_13:
	v_mov_b32_e32 v15, 0
	v_mov_b32_e32 v16, 0
                                        ; implicit-def: $vgpr21_vgpr22
                                        ; implicit-def: $vgpr38_vgpr39
.LBB2_14:
	v_subrev_u32_e32 v6, 64, v1
	v_cmp_ge_i32_e32 vcc, v4, v6
	v_cmp_gt_u32_e64 s[4:5], s6, v5
	v_mov_b32_e32 v13, 0
	v_mov_b32_e32 v5, 0
	;; [unrolled: 1-line block ×4, first 2 shown]
	s_and_b64 s[24:25], vcc, s[4:5]
	buffer_store_dword v5, off, s[0:3], s32 offset:64 ; 4-byte Folded Spill
	s_nop 0
	buffer_store_dword v6, off, s[0:3], s32 offset:68 ; 4-byte Folded Spill
                                        ; implicit-def: $vgpr48_vgpr49
	s_and_saveexec_b64 s[4:5], s[24:25]
	s_cbranch_execz .LBB2_16
; %bb.15:
	flat_load_dwordx2 v[5:6], v[2:3] offset:56
	s_waitcnt vmcnt(0) lgkmcnt(0)
	buffer_store_dword v5, off, s[0:3], s32 offset:64 ; 4-byte Folded Spill
	s_nop 0
	buffer_store_dword v6, off, s[0:3], s32 offset:68 ; 4-byte Folded Spill
	flat_load_dwordx2 v[48:49], v[2:3] offset:104
.LBB2_16:
	s_or_b64 exec, exec, s[4:5]
	v_mov_b32_e32 v52, 0
	v_mov_b32_e32 v53, 0
	v_cmp_gt_u32_e64 s[4:5], s6, v4
                                        ; implicit-def: $vgpr54_vgpr55
	s_and_saveexec_b64 s[6:7], s[4:5]
	s_cbranch_execz .LBB2_18
; %bb.17:
	flat_load_dwordx2 v[52:53], v[15:16] offset:56
	s_waitcnt vmcnt(0) lgkmcnt(0)
	flat_load_dwordx2 v[54:55], v[52:53] glc
	s_waitcnt vmcnt(0)
	flat_load_dwordx4 v[13:16], v[15:16] offset:96
.LBB2_18:
	s_or_b64 exec, exec, s[6:7]
	buffer_load_dword v32, off, s[0:3], s32 offset:88 ; 4-byte Folded Reload
	buffer_load_dword v33, off, s[0:3], s32 offset:92 ; 4-byte Folded Reload
	;; [unrolled: 1-line block ×4, first 2 shown]
	v_mov_b32_e32 v60, 0
	v_mov_b32_e32 v61, 0
	s_waitcnt vmcnt(0)
	v_cmp_ne_u64_e32 vcc, 0, v[34:35]
	s_and_saveexec_b64 s[26:27], vcc
	s_cbranch_execnz .LBB2_22
; %bb.19:
	s_or_b64 exec, exec, s[26:27]
	s_and_saveexec_b64 s[6:7], s[24:25]
	s_cbranch_execnz .LBB2_195
.LBB2_20:
	s_or_b64 exec, exec, s[6:7]
	s_and_saveexec_b64 s[6:7], s[4:5]
	s_cbranch_execnz .LBB2_196
.LBB2_21:
	s_or_b64 exec, exec, s[6:7]
	v_cmp_ne_u32_e32 vcc, 64, v1
	s_and_saveexec_b64 s[4:5], vcc
	s_cbranch_execnz .LBB2_197
	s_branch .LBB2_214
.LBB2_22:
	v_add_co_u32_e32 v2, vcc, v19, v32
	s_ashr_i32 s6, s8, 31
	v_addc_co_u32_e32 v5, vcc, v20, v33, vcc
	s_lshr_b32 s6, s6, 29
	v_add_co_u32_e32 v42, vcc, v2, v29
	s_ashr_i32 s23, s22, 31
	s_add_i32 s8, s8, s6
	v_addc_co_u32_e32 v43, vcc, v5, v0, vcc
	s_lshl_b64 s[6:7], s[22:23], 2
	v_mov_b32_e32 v0, s7
	v_add_co_u32_e32 v2, vcc, s6, v23
	v_addc_co_u32_e32 v0, vcc, v24, v0, vcc
	v_add_co_u32_e32 v5, vcc, -4, v2
	v_addc_co_u32_e32 v6, vcc, -1, v0, vcc
	buffer_store_dword v25, off, s[0:3], s32 offset:212 ; 4-byte Folded Spill
	s_nop 0
	buffer_store_dword v26, off, s[0:3], s32 offset:216 ; 4-byte Folded Spill
	buffer_store_dword v9, off, s[0:3], s32 offset:204 ; 4-byte Folded Spill
	s_nop 0
	buffer_store_dword v10, off, s[0:3], s32 offset:208 ; 4-byte Folded Spill
	;; [unrolled: 3-line block ×3, first 2 shown]
	v_and_b32_e32 v0, 63, v31
	v_cmp_eq_u32_e64 s[12:13], 0, v0
	v_lshrrev_b32_e32 v0, 6, v1
	v_lshlrev_b32_e32 v5, 1, v4
	s_ashr_i32 s10, s8, 3
	buffer_store_dword v0, off, s[0:3], s32 offset:84 ; 4-byte Folded Spill
	v_mov_b32_e32 v0, v5
	s_and_b32 s23, s10, -16
	v_cmp_ne_u32_e64 s[10:11], 64, v1
	buffer_store_dword v11, off, s[0:3], s32 offset:200 ; 4-byte Folded Spill
	v_cmp_ne_u32_sdwa s[42:43], v1, v11 src0_sel:DWORD src1_sel:WORD_0
	buffer_store_dword v31, off, s[0:3], s32 offset:196 ; 4-byte Folded Spill
	v_lshlrev_b32_e32 v56, 1, v1
	buffer_store_dword v0, off, s[0:3], s32 offset:128 ; 4-byte Folded Spill
	s_nop 0
	buffer_store_dword v1, off, s[0:3], s32 offset:132 ; 4-byte Folded Spill
	buffer_load_dword v9, off, s[0:3], s32 offset:144 ; 4-byte Folded Reload
	buffer_load_dword v10, off, s[0:3], s32 offset:148 ; 4-byte Folded Reload
	;; [unrolled: 1-line block ×4, first 2 shown]
	v_mov_b32_e32 v3, 0
	v_mov_b32_e32 v6, v3
	v_lshlrev_b64 v[7:8], 2, v[5:6]
	s_ashr_i32 s94, s8, 7
	v_cmp_ne_u64_e64 s[6:7], 0, v[52:53]
	s_waitcnt lgkmcnt(0)
	v_cmp_ne_u64_e64 s[8:9], 0, v[13:14]
	s_cmp_gt_i32 s22, 2
	v_mov_b32_e32 v32, 0
	v_mov_b32_e32 v60, 0
	v_and_b32_e32 v50, 0x7ffffc, v17
	s_mov_b32 s29, 0
	v_mov_b32_e32 v51, v3
	s_mov_b64 s[40:41], 0
	v_mov_b32_e32 v57, v3
	s_cselect_b64 s[44:45], -1, 0
	s_mov_b64 s[46:47], 0x7ffffff8
	v_mov_b32_e32 v25, 0
	v_mov_b32_e32 v33, 0
	;; [unrolled: 1-line block ×3, first 2 shown]
	s_waitcnt vmcnt(3)
	v_and_b32_e32 v2, 3, v9
	v_cmp_eq_u64_e64 s[16:17], 0, v[2:3]
	s_waitcnt vmcnt(1)
	v_add_co_u32_e32 v0, vcc, v11, v7
	buffer_store_dword v0, off, s[0:3], s32 offset:168 ; 4-byte Folded Spill
	s_waitcnt vmcnt(1)
	v_addc_co_u32_e32 v0, vcc, v12, v8, vcc
	buffer_store_dword v0, off, s[0:3], s32 offset:172 ; 4-byte Folded Spill
	v_add_co_u32_e32 v0, vcc, v9, v7
	buffer_load_dword v5, off, s[0:3], s32 offset:64 ; 4-byte Folded Reload
	buffer_load_dword v6, off, s[0:3], s32 offset:68 ; 4-byte Folded Reload
	s_nop 0
	buffer_store_dword v0, off, s[0:3], s32 offset:176 ; 4-byte Folded Spill
	buffer_store_dword v7, off, s[0:3], s32 offset:160 ; 4-byte Folded Spill
	s_nop 0
	buffer_store_dword v8, off, s[0:3], s32 offset:164 ; 4-byte Folded Spill
	v_addc_co_u32_e32 v0, vcc, v10, v8, vcc
	buffer_store_dword v0, off, s[0:3], s32 offset:180 ; 4-byte Folded Spill
	buffer_load_dword v8, off, s[0:3], s32 offset:104 ; 4-byte Folded Reload
	buffer_load_dword v9, off, s[0:3], s32 offset:108 ; 4-byte Folded Reload
	s_waitcnt vmcnt(6)
	v_cmp_ne_u64_e64 s[14:15], 0, v[5:6]
	v_mov_b32_e32 v5, v3
	v_lshlrev_b64 v[6:7], 3, v[4:5]
	s_waitcnt vmcnt(0)
	v_lshlrev_b64 v[8:9], 2, v[8:9]
	v_add_co_u32_e32 v0, vcc, v6, v8
	v_addc_co_u32_e32 v2, vcc, v7, v9, vcc
	v_add_co_u32_e32 v11, vcc, v11, v0
	v_lshlrev_b64 v[5:6], 4, v[4:5]
	v_addc_co_u32_e32 v12, vcc, v12, v2, vcc
	v_lshlrev_b32_e32 v0, 2, v17
	v_and_b32_e32 v41, 0x1fffff0, v0
	v_mov_b32_e32 v2, v3
	v_add_co_u32_e32 v0, vcc, v38, v5
	v_lshlrev_b64 v[62:63], 3, v[1:2]
	buffer_store_dword v0, off, s[0:3], s32 offset:188 ; 4-byte Folded Spill
	v_addc_co_u32_e32 v0, vcc, v39, v6, vcc
	v_lshlrev_b64 v[5:6], 4, v[1:2]
	v_mov_b32_e32 v9, v34
	v_mov_b32_e32 v10, v35
	buffer_store_dword v0, off, s[0:3], s32 offset:192 ; 4-byte Folded Spill
	buffer_store_dword v50, off, s[0:3], s32 offset:112 ; 4-byte Folded Spill
	s_nop 0
	buffer_store_dword v51, off, s[0:3], s32 offset:116 ; 4-byte Folded Spill
	buffer_store_dword v41, off, s[0:3], s32 offset:184 ; 4-byte Folded Spill
	s_branch .LBB2_24
.LBB2_23:                               ;   in Loop: Header=BB2_24 Depth=1
	s_or_b64 exec, exec, s[18:19]
	v_add_co_u32_e32 v36, vcc, 1, v36
	v_addc_co_u32_e32 v37, vcc, 0, v37, vcc
	s_waitcnt vmcnt(0)
	v_add_co_u32_e32 v32, vcc, v32, v50
	v_addc_co_u32_e32 v33, vcc, 0, v33, vcc
	v_add_co_u32_e32 v11, vcc, v11, v41
	v_addc_co_u32_e32 v12, vcc, 0, v12, vcc
	v_cmp_ge_u64_e32 vcc, v[32:33], v[9:10]
	s_or_b64 s[40:41], vcc, s[40:41]
	s_andn2_b64 exec, exec, s[40:41]
	s_cbranch_execz .LBB2_194
.LBB2_24:                               ; =>This Loop Header: Depth=1
                                        ;     Child Loop BB2_29 Depth 2
                                        ;     Child Loop BB2_48 Depth 2
	;; [unrolled: 1-line block ×5, first 2 shown]
                                        ;       Child Loop BB2_76 Depth 3
                                        ;       Child Loop BB2_95 Depth 3
                                        ;       Child Loop BB2_117 Depth 3
                                        ;         Child Loop BB2_123 Depth 4
                                        ;       Child Loop BB2_137 Depth 3
                                        ;       Child Loop BB2_112 Depth 3
                                        ;     Child Loop BB2_152 Depth 2
                                        ;       Child Loop BB2_158 Depth 3
                                        ;     Child Loop BB2_181 Depth 2
	buffer_load_dword v7, off, s[0:3], s32 offset:120 ; 4-byte Folded Reload
	buffer_load_dword v8, off, s[0:3], s32 offset:124 ; 4-byte Folded Reload
	s_waitcnt vmcnt(0)
	flat_load_dword v7, v[7:8]
	v_sub_co_u32_e32 v8, vcc, v9, v32
	v_subb_co_u32_e32 v9, vcc, v10, v33, vcc
	v_cmp_lt_u64_e32 vcc, v[50:51], v[8:9]
	v_cndmask_b32_e32 v8, v8, v50, vcc
	v_lshl_add_u32 v0, v8, 3, 8
	v_and_b32_e32 v0, 0x7fffff0, v0
	buffer_store_dword v0, off, s[0:3], s32 offset:80 ; 4-byte Folded Spill
	s_and_saveexec_b64 s[20:21], s[6:7]
	s_cbranch_execz .LBB2_40
; %bb.25:                               ;   in Loop: Header=BB2_24 Depth=1
	v_add_co_u32_e32 v9, vcc, 1, v15
	v_addc_co_u32_e32 v10, vcc, 0, v16, vcc
	s_waitcnt lgkmcnt(0)
	v_add_co_u32_e32 v16, vcc, 8, v54
	v_addc_co_u32_e32 v17, vcc, 0, v55, vcc
	v_cmp_lt_u64_e32 vcc, v[16:17], v[9:10]
	s_and_saveexec_b64 s[56:57], vcc
	s_cbranch_execz .LBB2_37
; %bb.26:                               ;   in Loop: Header=BB2_24 Depth=1
	s_mov_b32 s28, 0
	v_cmp_eq_u32_e32 vcc, 0, v25
	s_mov_b64 s[58:59], 0
                                        ; implicit-def: $sgpr60_sgpr61
                                        ; implicit-def: $sgpr62_sgpr63
                                        ; implicit-def: $sgpr72_sgpr73
	s_branch .LBB2_29
.LBB2_27:                               ;   in Loop: Header=BB2_29 Depth=2
	s_or_b64 exec, exec, s[90:91]
	s_andn2_b64 s[18:19], s[72:73], exec
	s_and_b64 s[72:73], s[78:79], exec
	s_or_b64 s[72:73], s[18:19], s[72:73]
	s_andn2_b64 s[18:19], s[62:63], exec
	s_and_b64 s[62:63], s[76:77], exec
	s_or_b64 s[62:63], s[18:19], s[62:63]
.LBB2_28:                               ;   in Loop: Header=BB2_29 Depth=2
	s_or_b64 exec, exec, s[74:75]
	s_and_b64 s[18:19], exec, s[62:63]
	s_or_b64 s[58:59], s[18:19], s[58:59]
	s_andn2_b64 s[18:19], s[60:61], exec
	s_and_b64 s[60:61], s[72:73], exec
	s_or_b64 s[60:61], s[18:19], s[60:61]
	s_andn2_b64 exec, exec, s[58:59]
	s_cbranch_execz .LBB2_34
.LBB2_29:                               ;   Parent Loop BB2_24 Depth=1
                                        ; =>  This Inner Loop Header: Depth=2
	s_sleep 1
	s_waitcnt vmcnt(0) lgkmcnt(0)
	flat_load_dwordx2 v[54:55], v[52:53] glc
	v_mov_b32_e32 v25, 1
	s_or_b64 s[72:73], s[72:73], exec
	s_or_b64 s[62:63], s[62:63], exec
                                        ; implicit-def: $vgpr0
	s_and_saveexec_b64 s[74:75], vcc
	s_cbranch_execz .LBB2_28
; %bb.30:                               ;   in Loop: Header=BB2_29 Depth=2
	s_add_i32 s28, s28, 1
	s_cmpk_lg_i32 s28, 0x2710
	s_cselect_b64 s[88:89], -1, 0
	s_cmpk_eq_i32 s28, 0x2710
	s_mov_b64 s[76:77], -1
	s_mov_b64 s[78:79], -1
                                        ; implicit-def: $vgpr0
	s_cbranch_scc1 .LBB2_32
; %bb.31:                               ;   in Loop: Header=BB2_29 Depth=2
	v_mov_b32_e32 v25, 1
	s_and_saveexec_b64 s[90:91], s[88:89]
	s_cbranch_execz .LBB2_27
	s_branch .LBB2_33
.LBB2_32:                               ;   in Loop: Header=BB2_29 Depth=2
	s_trap 2
	ds_read_b64 v[16:17], v0
	s_andn2_b64 s[88:89], s[88:89], exec
	s_mov_b32 s28, 0
	s_mov_b64 s[78:79], 0
	s_waitcnt vmcnt(0) lgkmcnt(0)
	flat_load_dword v0, v[16:17] glc
	s_waitcnt vmcnt(0) lgkmcnt(0)
	buffer_wbinvl1_vol
	v_cmp_eq_u32_e64 s[18:19], 0, v0
	s_and_b64 s[18:19], s[18:19], exec
	s_or_b64 s[88:89], s[88:89], s[18:19]
	v_mov_b32_e32 v25, 1
	s_and_saveexec_b64 s[90:91], s[88:89]
	s_cbranch_execz .LBB2_27
.LBB2_33:                               ;   in Loop: Header=BB2_29 Depth=2
	s_waitcnt vmcnt(0) lgkmcnt(0)
	v_add_co_u32_e64 v16, s[18:19], 8, v54
	v_addc_co_u32_e64 v17, s[18:19], 0, v55, s[18:19]
	v_cmp_ge_u64_e64 s[18:19], v[16:17], v[9:10]
	v_mov_b32_e32 v25, 0
	s_or_b64 s[78:79], s[78:79], exec
	s_orn2_b64 s[76:77], s[18:19], exec
	s_branch .LBB2_27
.LBB2_34:                               ;   in Loop: Header=BB2_24 Depth=1
	s_or_b64 exec, exec, s[58:59]
	s_xor_b64 s[18:19], s[60:61], -1
	s_and_saveexec_b64 s[58:59], s[18:19]
	s_xor_b64 s[18:19], exec, s[58:59]
	s_cbranch_execz .LBB2_36
; %bb.35:                               ;   in Loop: Header=BB2_24 Depth=1
	v_mov_b32_e32 v25, 1
	s_waitcnt lgkmcnt(0)
	ds_write_b32 v0, v0
	s_trap 2
.LBB2_36:                               ;   in Loop: Header=BB2_24 Depth=1
	s_or_b64 exec, exec, s[18:19]
.LBB2_37:                               ;   in Loop: Header=BB2_24 Depth=1
	s_or_b64 exec, exec, s[56:57]
	s_and_saveexec_b64 s[18:19], s[8:9]
	s_cbranch_execz .LBB2_39
; %bb.38:                               ;   in Loop: Header=BB2_24 Depth=1
	v_and_b32_e32 v2, 0x7ffffff8, v15
	v_cmp_eq_u64_e32 vcc, s[46:47], v[2:3]
	buffer_load_dword v2, off, s[0:3], s32 offset:80 ; 4-byte Folded Reload
	v_and_b32_e32 v0, 7, v15
	v_mad_u64_u32 v[15:16], s[56:57], v0, 24, v[13:14]
	v_mov_b32_e32 v0, s23
	s_waitcnt vmcnt(0)
	v_cndmask_b32_e32 v17, v2, v0, vcc
	v_ashrrev_i32_e32 v18, 31, v17
	flat_store_dwordx2 v[15:16], v[17:18] offset:8
	s_waitcnt vmcnt(0)
.LBB2_39:                               ;   in Loop: Header=BB2_24 Depth=1
	s_or_b64 exec, exec, s[18:19]
	v_mov_b32_e32 v16, v10
	v_mov_b32_e32 v15, v9
.LBB2_40:                               ;   in Loop: Header=BB2_24 Depth=1
	s_or_b64 exec, exec, s[20:21]
	s_and_saveexec_b64 s[18:19], s[10:11]
	s_cbranch_execz .LBB2_59
; %bb.41:                               ;   in Loop: Header=BB2_24 Depth=1
	s_and_saveexec_b64 s[20:21], s[42:43]
	s_xor_b64 s[20:21], exec, s[20:21]
	s_cbranch_execz .LBB2_56
; %bb.42:                               ;   in Loop: Header=BB2_24 Depth=1
	s_and_saveexec_b64 s[56:57], s[12:13]
	s_cbranch_execz .LBB2_55
; %bb.43:                               ;   in Loop: Header=BB2_24 Depth=1
	s_mov_b64 s[60:61], exec
	v_mbcnt_lo_u32_b32 v0, s60, 0
	v_mbcnt_hi_u32_b32 v0, s61, v0
	v_cmp_eq_u32_e32 vcc, 0, v0
	s_waitcnt vmcnt(0) lgkmcnt(0)
	buffer_wbinvl1_vol
	s_and_saveexec_b64 s[58:59], vcc
	s_cbranch_execz .LBB2_45
; %bb.44:                               ;   in Loop: Header=BB2_24 Depth=1
	s_bcnt1_i32_b64 s28, s[60:61]
	v_mov_b32_e32 v2, s28
	ds_add_u64 v0, v[2:3]
	s_trap 2
.LBB2_45:                               ;   in Loop: Header=BB2_24 Depth=1
	s_or_b64 exec, exec, s[58:59]
	s_trap 2
	ds_read_b64 v[9:10], v0
	s_waitcnt lgkmcnt(0)
	buffer_load_dword v0, off, s[0:3], s32 offset:84 ; 4-byte Folded Reload
	s_waitcnt vmcnt(0)
	v_add_co_u32_e32 v60, vcc, v60, v0
	v_addc_co_u32_e32 v61, vcc, 0, v61, vcc
	v_cmp_lt_u64_e32 vcc, v[9:10], v[60:61]
	s_and_saveexec_b64 s[58:59], vcc
	s_cbranch_execz .LBB2_54
; %bb.46:                               ;   in Loop: Header=BB2_24 Depth=1
	s_mov_b32 s28, 0
	s_mov_b64 s[60:61], 0
                                        ; implicit-def: $sgpr62_sgpr63
                                        ; implicit-def: $sgpr72_sgpr73
	s_branch .LBB2_48
.LBB2_47:                               ;   in Loop: Header=BB2_48 Depth=2
	s_or_b64 exec, exec, s[76:77]
	s_and_b64 s[74:75], exec, s[78:79]
	s_or_b64 s[60:61], s[74:75], s[60:61]
	s_andn2_b64 s[62:63], s[62:63], exec
	s_and_b64 s[74:75], s[72:73], exec
	s_or_b64 s[62:63], s[62:63], s[74:75]
	s_andn2_b64 exec, exec, s[60:61]
	s_cbranch_execz .LBB2_52
.LBB2_48:                               ;   Parent Loop BB2_24 Depth=1
                                        ; =>  This Inner Loop Header: Depth=2
	s_add_i32 s28, s28, 1
	s_cmpk_lg_i32 s28, 0x2710
	s_cselect_b64 s[74:75], -1, 0
	s_and_b64 vcc, exec, s[74:75]
	s_cbranch_vccz .LBB2_50
; %bb.49:                               ;   in Loop: Header=BB2_48 Depth=2
	s_mov_b64 s[78:79], -1
	s_or_b64 s[72:73], s[72:73], exec
	s_and_saveexec_b64 s[76:77], s[74:75]
	s_cbranch_execz .LBB2_47
	s_branch .LBB2_51
.LBB2_50:                               ;   in Loop: Header=BB2_48 Depth=2
	s_trap 2
	ds_read_b64 v[9:10], v0
	s_andn2_b64 s[74:75], s[74:75], exec
	s_mov_b32 s28, 0
	s_waitcnt lgkmcnt(0)
	flat_load_dword v0, v[9:10] glc
	s_waitcnt vmcnt(0) lgkmcnt(0)
	buffer_wbinvl1_vol
	v_cmp_eq_u32_e32 vcc, 0, v0
	s_and_b64 s[76:77], vcc, exec
	s_or_b64 s[74:75], s[74:75], s[76:77]
	s_mov_b64 s[78:79], -1
	s_or_b64 s[72:73], s[72:73], exec
	s_and_saveexec_b64 s[76:77], s[74:75]
	s_cbranch_execz .LBB2_47
.LBB2_51:                               ;   in Loop: Header=BB2_48 Depth=2
	s_sleep 1
	s_trap 2
	ds_read_b64 v[9:10], v0
	s_waitcnt lgkmcnt(0)
	s_andn2_b64 s[72:73], s[72:73], exec
	v_cmp_ge_u64_e32 vcc, v[9:10], v[60:61]
	s_orn2_b64 s[78:79], vcc, exec
	s_branch .LBB2_47
.LBB2_52:                               ;   in Loop: Header=BB2_24 Depth=1
	s_or_b64 exec, exec, s[60:61]
	s_and_saveexec_b64 s[60:61], s[62:63]
	s_xor_b64 s[60:61], exec, s[60:61]
	s_cbranch_execz .LBB2_54
; %bb.53:                               ;   in Loop: Header=BB2_24 Depth=1
	v_mov_b32_e32 v0, 1
	ds_write_b32 v0, v0
	s_trap 2
.LBB2_54:                               ;   in Loop: Header=BB2_24 Depth=1
	s_or_b64 exec, exec, s[58:59]
	;;#ASMSTART
	s_wakeup
	;;#ASMEND
.LBB2_55:                               ;   in Loop: Header=BB2_24 Depth=1
	s_or_b64 exec, exec, s[56:57]
.LBB2_56:                               ;   in Loop: Header=BB2_24 Depth=1
	s_andn2_saveexec_b64 s[20:21], s[20:21]
	s_cbranch_execz .LBB2_58
; %bb.57:                               ;   in Loop: Header=BB2_24 Depth=1
	s_waitcnt vmcnt(0) lgkmcnt(0)
	buffer_wbinvl1_vol
	s_barrier
.LBB2_58:                               ;   in Loop: Header=BB2_24 Depth=1
	s_or_b64 exec, exec, s[20:21]
.LBB2_59:                               ;   in Loop: Header=BB2_24 Depth=1
	s_or_b64 exec, exec, s[18:19]
	buffer_load_dword v9, off, s[0:3], s32 offset:128 ; 4-byte Folded Reload
	buffer_load_dword v10, off, s[0:3], s32 offset:132 ; 4-byte Folded Reload
	v_and_b32_e32 v0, 7, v21
	v_add_u32_e32 v18, 1, v21
	s_waitcnt vmcnt(0)
	v_sub_u32_e32 v34, v8, v9
	v_cmp_lt_i32_e64 s[18:19], 0, v34
	v_mov_b32_e32 v9, v4
	s_and_saveexec_b64 s[20:21], s[18:19]
	s_cbranch_execz .LBB2_65
; %bb.60:                               ;   in Loop: Header=BB2_24 Depth=1
	v_lshlrev_b64 v[9:10], 2, v[42:43]
	s_waitcnt lgkmcnt(0)
	v_ashrrev_i32_e32 v2, 31, v7
	v_mul_lo_u32 v10, v10, v7
	v_mul_lo_u32 v2, v9, v2
	v_mad_u64_u32 v[28:29], s[56:57], v9, v7, 0
	v_mul_lo_u32 v8, v0, s94
	s_mov_b64 s[56:57], 0
	v_add3_u32 v29, v29, v2, v10
	buffer_load_dword v2, off, s[0:3], s32 offset:188 ; 4-byte Folded Reload
	v_ashrrev_i32_e32 v9, 31, v8
	v_lshlrev_b64 v[7:8], 4, v[8:9]
	v_mov_b32_e32 v9, v4
                                        ; implicit-def: $vgpr44_vgpr45
	s_waitcnt vmcnt(0)
	v_add_co_u32_e32 v30, vcc, v2, v7
	buffer_load_dword v2, off, s[0:3], s32 offset:192 ; 4-byte Folded Reload
	s_waitcnt vmcnt(0)
	v_addc_co_u32_e32 v31, vcc, v2, v8, vcc
	v_mov_b32_e32 v2, v34
	s_branch .LBB2_62
.LBB2_61:                               ;   in Loop: Header=BB2_62 Depth=2
	s_or_b64 exec, exec, s[58:59]
	s_waitcnt vmcnt(0)
	v_mul_lo_u32 v17, v7, v27
	v_mul_lo_u32 v19, v45, v27
	v_add_co_u32_e32 v28, vcc, v28, v62
	v_sub_u32_e32 v2, v2, v56
	v_addc_co_u32_e32 v29, vcc, v29, v63, vcc
	v_mov_b32_e32 v20, v18
	v_cmp_gt_i32_e32 vcc, 1, v2
	global_store_dwordx4 v[30:31], v[17:20], off
	s_or_b64 s[56:57], vcc, s[56:57]
	v_add_co_u32_e32 v30, vcc, v30, v5
	v_add_u32_e32 v9, v9, v1
	v_addc_co_u32_e32 v31, vcc, v31, v6, vcc
	s_andn2_b64 exec, exec, s[56:57]
	s_cbranch_execz .LBB2_64
.LBB2_62:                               ;   Parent Loop BB2_24 Depth=1
                                        ; =>  This Inner Loop Header: Depth=2
	v_add_co_u32_e32 v19, vcc, v11, v28
	v_addc_co_u32_e32 v20, vcc, v12, v29, vcc
	global_load_dword v7, v[19:20], off glc slc
	v_cmp_ne_u32_e32 vcc, 1, v2
	s_and_saveexec_b64 s[58:59], vcc
	s_cbranch_execz .LBB2_61
; %bb.63:                               ;   in Loop: Header=BB2_62 Depth=2
	global_load_dword v45, v[19:20], off offset:4 glc slc
	s_branch .LBB2_61
.LBB2_64:                               ;   in Loop: Header=BB2_24 Depth=1
	s_or_b64 exec, exec, s[56:57]
.LBB2_65:                               ;   in Loop: Header=BB2_24 Depth=1
	s_or_b64 exec, exec, s[20:21]
	v_and_b32_e32 v2, 0x7ffffff8, v21
	v_cmp_eq_u64_e32 vcc, s[46:47], v[2:3]
	v_cmp_gt_i32_e64 s[20:21], s94, v9
	s_and_b64 s[20:21], vcc, s[20:21]
	s_and_saveexec_b64 s[56:57], s[20:21]
	s_cbranch_execz .LBB2_68
; %bb.66:                               ;   in Loop: Header=BB2_24 Depth=1
	s_waitcnt lgkmcnt(0)
	v_mul_lo_u32 v7, v0, s94
	v_ashrrev_i32_e32 v10, 31, v9
	v_lshlrev_b64 v[19:20], 4, v[9:10]
	v_mov_b32_e32 v17, v3
	v_ashrrev_i32_e32 v8, 31, v7
	v_lshlrev_b64 v[7:8], 4, v[7:8]
	s_mov_b64 s[58:59], 0
	v_add_co_u32_e32 v0, vcc, v19, v7
	v_addc_co_u32_e32 v2, vcc, v20, v8, vcc
	v_add_co_u32_e32 v28, vcc, v38, v0
	v_addc_co_u32_e32 v29, vcc, v39, v2, vcc
.LBB2_67:                               ;   Parent Loop BB2_24 Depth=1
                                        ; =>  This Inner Loop Header: Depth=2
	v_mov_b32_e32 v19, v17
	v_mov_b32_e32 v20, v18
	v_add_u32_e32 v9, v9, v1
	global_store_dwordx4 v[28:29], v[17:20], off
	v_add_co_u32_e32 v28, vcc, v28, v5
	v_cmp_le_i32_e64 s[20:21], s94, v9
	s_or_b64 s[58:59], s[20:21], s[58:59]
	v_addc_co_u32_e32 v29, vcc, v29, v6, vcc
	s_andn2_b64 exec, exec, s[58:59]
	s_cbranch_execnz .LBB2_67
.LBB2_68:                               ;   in Loop: Header=BB2_24 Depth=1
	s_or_b64 exec, exec, s[56:57]
	s_waitcnt lgkmcnt(0)
	buffer_load_dword v7, off, s[0:3], s32 offset:104 ; 4-byte Folded Reload
	buffer_load_dword v8, off, s[0:3], s32 offset:108 ; 4-byte Folded Reload
	v_add_co_u32_e64 v28, s[20:21], 1, v21
	v_addc_co_u32_e64 v29, s[20:21], 0, v22, s[20:21]
	s_waitcnt vmcnt(1)
	v_add_co_u32_e32 v7, vcc, v32, v7
	s_waitcnt vmcnt(0)
	v_addc_co_u32_e32 v8, vcc, v33, v8, vcc
	v_lshlrev_b64 v[7:8], 2, v[7:8]
	s_andn2_b64 vcc, exec, s[44:45]
	s_cbranch_vccnz .LBB2_148
; %bb.69:                               ;   in Loop: Header=BB2_24 Depth=1
	buffer_load_dword v0, off, s[0:3], s32 offset:168 ; 4-byte Folded Reload
	s_mov_b32 s95, 2
	s_waitcnt vmcnt(0)
	v_add_co_u32_e32 v41, vcc, v0, v7
	buffer_load_dword v0, off, s[0:3], s32 offset:172 ; 4-byte Folded Reload
	s_nop 0
	buffer_store_dword v7, off, s[0:3], s32 offset:136 ; 4-byte Folded Spill
	s_nop 0
	buffer_store_dword v8, off, s[0:3], s32 offset:140 ; 4-byte Folded Spill
	s_waitcnt vmcnt(2)
	v_addc_co_u32_e32 v7, vcc, v0, v8, vcc
	v_add_u16_e32 v8, 1, v21
	s_branch .LBB2_71
.LBB2_70:                               ;   in Loop: Header=BB2_71 Depth=2
	s_or_b64 exec, exec, s[56:57]
	v_add_co_u32_e32 v36, vcc, 1, v36
	v_addc_co_u32_e32 v37, vcc, 0, v37, vcc
	s_add_i32 s95, s95, 1
	v_add_co_u32_e32 v28, vcc, 1, v28
	v_addc_co_u32_e32 v29, vcc, 0, v29, vcc
	s_cmp_eq_u32 s95, s22
	v_add_u16_e32 v8, 1, v8
	s_cbranch_scc1 .LBB2_149
.LBB2_71:                               ;   Parent Loop BB2_24 Depth=1
                                        ; =>  This Loop Header: Depth=2
                                        ;       Child Loop BB2_76 Depth 3
                                        ;       Child Loop BB2_95 Depth 3
	;; [unrolled: 1-line block ×3, first 2 shown]
                                        ;         Child Loop BB2_123 Depth 4
                                        ;       Child Loop BB2_137 Depth 3
                                        ;       Child Loop BB2_112 Depth 3
	s_sub_i32 s28, s22, s95
	s_lshl_b64 s[20:21], s[28:29], 2
	v_mov_b32_e32 v0, s21
	v_add_co_u32_e32 v9, vcc, s20, v23
	v_addc_co_u32_e32 v10, vcc, v24, v0, vcc
	s_waitcnt vmcnt(0) lgkmcnt(0)
	flat_load_dword v17, v[9:10]
	s_and_saveexec_b64 s[56:57], s[6:7]
	s_cbranch_execz .LBB2_87
; %bb.72:                               ;   in Loop: Header=BB2_71 Depth=2
	v_add_co_u32_e32 v9, vcc, 1, v15
	v_addc_co_u32_e32 v10, vcc, 0, v16, vcc
	v_add_co_u32_e32 v18, vcc, 8, v54
	v_addc_co_u32_e32 v19, vcc, 0, v55, vcc
	v_cmp_lt_u64_e32 vcc, v[18:19], v[9:10]
	s_and_saveexec_b64 s[58:59], vcc
	s_cbranch_execz .LBB2_84
; %bb.73:                               ;   in Loop: Header=BB2_71 Depth=2
	s_mov_b32 s28, 0
	v_cmp_eq_u32_e32 vcc, 0, v25
	s_mov_b64 s[60:61], 0
                                        ; implicit-def: $sgpr62_sgpr63
                                        ; implicit-def: $sgpr72_sgpr73
                                        ; implicit-def: $sgpr74_sgpr75
	s_branch .LBB2_76
.LBB2_74:                               ;   in Loop: Header=BB2_76 Depth=3
	s_or_b64 exec, exec, s[92:93]
	s_andn2_b64 s[20:21], s[74:75], exec
	s_and_b64 s[74:75], s[88:89], exec
	s_or_b64 s[74:75], s[20:21], s[74:75]
	s_andn2_b64 s[20:21], s[72:73], exec
	s_and_b64 s[72:73], s[78:79], exec
	s_or_b64 s[72:73], s[20:21], s[72:73]
.LBB2_75:                               ;   in Loop: Header=BB2_76 Depth=3
	s_or_b64 exec, exec, s[76:77]
	s_and_b64 s[20:21], exec, s[72:73]
	s_or_b64 s[60:61], s[20:21], s[60:61]
	s_andn2_b64 s[20:21], s[62:63], exec
	s_and_b64 s[62:63], s[74:75], exec
	s_or_b64 s[62:63], s[20:21], s[62:63]
	s_andn2_b64 exec, exec, s[60:61]
	s_cbranch_execz .LBB2_81
.LBB2_76:                               ;   Parent Loop BB2_24 Depth=1
                                        ;     Parent Loop BB2_71 Depth=2
                                        ; =>    This Inner Loop Header: Depth=3
	s_sleep 1
	s_waitcnt vmcnt(0) lgkmcnt(0)
	flat_load_dwordx2 v[54:55], v[52:53] glc
	v_mov_b32_e32 v25, 1
	s_or_b64 s[74:75], s[74:75], exec
	s_or_b64 s[72:73], s[72:73], exec
                                        ; implicit-def: $vgpr0
	s_and_saveexec_b64 s[76:77], vcc
	s_cbranch_execz .LBB2_75
; %bb.77:                               ;   in Loop: Header=BB2_76 Depth=3
	s_add_i32 s28, s28, 1
	s_cmpk_lg_i32 s28, 0x2710
	s_cselect_b64 s[90:91], -1, 0
	s_cmpk_eq_i32 s28, 0x2710
	s_mov_b64 s[78:79], -1
	s_mov_b64 s[88:89], -1
                                        ; implicit-def: $vgpr0
	s_cbranch_scc1 .LBB2_79
; %bb.78:                               ;   in Loop: Header=BB2_76 Depth=3
	v_mov_b32_e32 v25, 1
	s_and_saveexec_b64 s[92:93], s[90:91]
	s_cbranch_execz .LBB2_74
	s_branch .LBB2_80
.LBB2_79:                               ;   in Loop: Header=BB2_76 Depth=3
	s_trap 2
	ds_read_b64 v[18:19], v0
	s_andn2_b64 s[90:91], s[90:91], exec
	s_mov_b32 s28, 0
	s_mov_b64 s[88:89], 0
	s_waitcnt vmcnt(0) lgkmcnt(0)
	flat_load_dword v0, v[18:19] glc
	s_waitcnt vmcnt(0) lgkmcnt(0)
	buffer_wbinvl1_vol
	v_cmp_eq_u32_e64 s[20:21], 0, v0
	s_and_b64 s[20:21], s[20:21], exec
	s_or_b64 s[90:91], s[90:91], s[20:21]
	v_mov_b32_e32 v25, 1
	s_and_saveexec_b64 s[92:93], s[90:91]
	s_cbranch_execz .LBB2_74
.LBB2_80:                               ;   in Loop: Header=BB2_76 Depth=3
	s_waitcnt vmcnt(0) lgkmcnt(0)
	v_add_co_u32_e64 v18, s[20:21], 8, v54
	v_addc_co_u32_e64 v19, s[20:21], 0, v55, s[20:21]
	v_cmp_ge_u64_e64 s[20:21], v[18:19], v[9:10]
	v_mov_b32_e32 v25, 0
	s_or_b64 s[88:89], s[88:89], exec
	s_orn2_b64 s[78:79], s[20:21], exec
	s_branch .LBB2_74
.LBB2_81:                               ;   in Loop: Header=BB2_71 Depth=2
	s_or_b64 exec, exec, s[60:61]
	s_xor_b64 s[20:21], s[62:63], -1
	s_and_saveexec_b64 s[60:61], s[20:21]
	s_xor_b64 s[20:21], exec, s[60:61]
	s_cbranch_execz .LBB2_83
; %bb.82:                               ;   in Loop: Header=BB2_71 Depth=2
	v_mov_b32_e32 v25, 1
	s_waitcnt lgkmcnt(0)
	ds_write_b32 v0, v0
	s_trap 2
.LBB2_83:                               ;   in Loop: Header=BB2_71 Depth=2
	s_or_b64 exec, exec, s[20:21]
.LBB2_84:                               ;   in Loop: Header=BB2_71 Depth=2
	s_or_b64 exec, exec, s[58:59]
	s_and_saveexec_b64 s[20:21], s[8:9]
	s_cbranch_execz .LBB2_86
; %bb.85:                               ;   in Loop: Header=BB2_71 Depth=2
	v_and_b32_e32 v2, 0x7ffffff8, v15
	v_cmp_eq_u64_e32 vcc, s[46:47], v[2:3]
	buffer_load_dword v2, off, s[0:3], s32 offset:80 ; 4-byte Folded Reload
	v_and_b32_e32 v0, 7, v15
	v_mad_u64_u32 v[15:16], s[58:59], v0, 24, v[13:14]
	v_mov_b32_e32 v0, s23
	s_waitcnt vmcnt(0)
	v_cndmask_b32_e32 v18, v2, v0, vcc
	v_ashrrev_i32_e32 v19, 31, v18
	flat_store_dwordx2 v[15:16], v[18:19] offset:8
	s_waitcnt vmcnt(0)
.LBB2_86:                               ;   in Loop: Header=BB2_71 Depth=2
	s_or_b64 exec, exec, s[20:21]
	v_mov_b32_e32 v16, v10
	v_mov_b32_e32 v15, v9
.LBB2_87:                               ;   in Loop: Header=BB2_71 Depth=2
	s_or_b64 exec, exec, s[56:57]
	s_and_saveexec_b64 s[20:21], s[10:11]
	s_cbranch_execz .LBB2_106
; %bb.88:                               ;   in Loop: Header=BB2_71 Depth=2
	s_and_saveexec_b64 s[56:57], s[42:43]
	s_xor_b64 s[56:57], exec, s[56:57]
	s_cbranch_execz .LBB2_103
; %bb.89:                               ;   in Loop: Header=BB2_71 Depth=2
	s_and_saveexec_b64 s[58:59], s[12:13]
	s_cbranch_execz .LBB2_102
; %bb.90:                               ;   in Loop: Header=BB2_71 Depth=2
	s_mov_b64 s[62:63], exec
	v_mbcnt_lo_u32_b32 v0, s62, 0
	v_mbcnt_hi_u32_b32 v0, s63, v0
	v_cmp_eq_u32_e32 vcc, 0, v0
	s_waitcnt vmcnt(0) lgkmcnt(0)
	buffer_wbinvl1_vol
	s_and_saveexec_b64 s[60:61], vcc
	s_cbranch_execz .LBB2_92
; %bb.91:                               ;   in Loop: Header=BB2_71 Depth=2
	s_bcnt1_i32_b64 s28, s[62:63]
	v_mov_b32_e32 v2, s28
	ds_add_u64 v0, v[2:3]
	s_trap 2
.LBB2_92:                               ;   in Loop: Header=BB2_71 Depth=2
	s_or_b64 exec, exec, s[60:61]
	s_trap 2
	ds_read_b64 v[9:10], v0
	s_waitcnt lgkmcnt(0)
	buffer_load_dword v0, off, s[0:3], s32 offset:84 ; 4-byte Folded Reload
	s_waitcnt vmcnt(0)
	v_add_co_u32_e32 v60, vcc, v60, v0
	v_addc_co_u32_e32 v61, vcc, 0, v61, vcc
	v_cmp_lt_u64_e32 vcc, v[9:10], v[60:61]
	s_and_saveexec_b64 s[60:61], vcc
	s_cbranch_execz .LBB2_101
; %bb.93:                               ;   in Loop: Header=BB2_71 Depth=2
	s_mov_b32 s28, 0
	s_mov_b64 s[62:63], 0
                                        ; implicit-def: $sgpr72_sgpr73
                                        ; implicit-def: $sgpr74_sgpr75
	s_branch .LBB2_95
.LBB2_94:                               ;   in Loop: Header=BB2_95 Depth=3
	s_or_b64 exec, exec, s[78:79]
	s_and_b64 s[76:77], exec, s[88:89]
	s_or_b64 s[62:63], s[76:77], s[62:63]
	s_andn2_b64 s[72:73], s[72:73], exec
	s_and_b64 s[76:77], s[74:75], exec
	s_or_b64 s[72:73], s[72:73], s[76:77]
	s_andn2_b64 exec, exec, s[62:63]
	s_cbranch_execz .LBB2_99
.LBB2_95:                               ;   Parent Loop BB2_24 Depth=1
                                        ;     Parent Loop BB2_71 Depth=2
                                        ; =>    This Inner Loop Header: Depth=3
	s_add_i32 s28, s28, 1
	s_cmpk_lg_i32 s28, 0x2710
	s_cselect_b64 s[76:77], -1, 0
	s_and_b64 vcc, exec, s[76:77]
	s_cbranch_vccz .LBB2_97
; %bb.96:                               ;   in Loop: Header=BB2_95 Depth=3
	s_mov_b64 s[88:89], -1
	s_or_b64 s[74:75], s[74:75], exec
	s_and_saveexec_b64 s[78:79], s[76:77]
	s_cbranch_execz .LBB2_94
	s_branch .LBB2_98
.LBB2_97:                               ;   in Loop: Header=BB2_95 Depth=3
	s_trap 2
	ds_read_b64 v[9:10], v0
	s_andn2_b64 s[76:77], s[76:77], exec
	s_mov_b32 s28, 0
	s_waitcnt lgkmcnt(0)
	flat_load_dword v0, v[9:10] glc
	s_waitcnt vmcnt(0) lgkmcnt(0)
	buffer_wbinvl1_vol
	v_cmp_eq_u32_e32 vcc, 0, v0
	s_and_b64 s[78:79], vcc, exec
	s_or_b64 s[76:77], s[76:77], s[78:79]
	s_mov_b64 s[88:89], -1
	s_or_b64 s[74:75], s[74:75], exec
	s_and_saveexec_b64 s[78:79], s[76:77]
	s_cbranch_execz .LBB2_94
.LBB2_98:                               ;   in Loop: Header=BB2_95 Depth=3
	s_sleep 1
	s_trap 2
	ds_read_b64 v[9:10], v0
	s_waitcnt lgkmcnt(0)
	s_andn2_b64 s[74:75], s[74:75], exec
	v_cmp_ge_u64_e32 vcc, v[9:10], v[60:61]
	s_orn2_b64 s[88:89], vcc, exec
	s_branch .LBB2_94
.LBB2_99:                               ;   in Loop: Header=BB2_71 Depth=2
	s_or_b64 exec, exec, s[62:63]
	s_and_saveexec_b64 s[62:63], s[72:73]
	s_xor_b64 s[62:63], exec, s[62:63]
	s_cbranch_execz .LBB2_101
; %bb.100:                              ;   in Loop: Header=BB2_71 Depth=2
	v_mov_b32_e32 v0, 1
	ds_write_b32 v0, v0
	s_trap 2
.LBB2_101:                              ;   in Loop: Header=BB2_71 Depth=2
	s_or_b64 exec, exec, s[60:61]
	;;#ASMSTART
	s_wakeup
	;;#ASMEND
.LBB2_102:                              ;   in Loop: Header=BB2_71 Depth=2
	s_or_b64 exec, exec, s[58:59]
.LBB2_103:                              ;   in Loop: Header=BB2_71 Depth=2
	s_andn2_saveexec_b64 s[56:57], s[56:57]
	s_cbranch_execz .LBB2_105
; %bb.104:                              ;   in Loop: Header=BB2_71 Depth=2
	s_waitcnt vmcnt(0) lgkmcnt(0)
	buffer_wbinvl1_vol
	s_barrier
.LBB2_105:                              ;   in Loop: Header=BB2_71 Depth=2
	s_or_b64 exec, exec, s[56:57]
.LBB2_106:                              ;   in Loop: Header=BB2_71 Depth=2
	s_or_b64 exec, exec, s[20:21]
	v_add_u32_e32 v18, 1, v28
	v_mov_b32_e32 v2, v4
	s_and_saveexec_b64 s[56:57], s[18:19]
	s_cbranch_execnz .LBB2_113
; %bb.107:                              ;   in Loop: Header=BB2_71 Depth=2
	s_or_b64 exec, exec, s[56:57]
	s_and_saveexec_b64 s[20:21], s[10:11]
	s_cbranch_execnz .LBB2_130
.LBB2_108:                              ;   in Loop: Header=BB2_71 Depth=2
	s_or_b64 exec, exec, s[20:21]
	s_and_saveexec_b64 s[20:21], s[14:15]
	s_cbranch_execz .LBB2_110
.LBB2_109:                              ;   in Loop: Header=BB2_71 Depth=2
	buffer_load_dword v9, off, s[0:3], s32 offset:64 ; 4-byte Folded Reload
	buffer_load_dword v10, off, s[0:3], s32 offset:68 ; 4-byte Folded Reload
	v_add_co_u32_e32 v48, vcc, 1, v48
	v_addc_co_u32_e32 v49, vcc, 0, v49, vcc
	s_waitcnt vmcnt(0)
	flat_store_dwordx2 v[9:10], v[48:49]
.LBB2_110:                              ;   in Loop: Header=BB2_71 Depth=2
	s_or_b64 exec, exec, s[20:21]
	v_and_b32_e32 v9, 0x7ffffff8, v28
	v_mov_b32_e32 v10, v3
	v_cmp_eq_u64_e32 vcc, s[46:47], v[9:10]
	v_cmp_gt_i32_e64 s[20:21], s94, v2
	s_and_b64 s[20:21], vcc, s[20:21]
	s_and_saveexec_b64 s[56:57], s[20:21]
	s_cbranch_execz .LBB2_70
; %bb.111:                              ;   in Loop: Header=BB2_71 Depth=2
	v_and_b32_e32 v0, 7, v8
	v_mul_lo_u32 v9, s94, v0
	v_ashrrev_i32_e32 v20, 31, v2
	v_mov_b32_e32 v19, v2
	v_lshlrev_b64 v[19:20], 4, v[19:20]
	v_ashrrev_i32_e32 v10, 31, v9
	v_lshlrev_b64 v[9:10], 4, v[9:10]
	s_waitcnt vmcnt(0) lgkmcnt(0)
	v_mov_b32_e32 v17, v3
	v_add_co_u32_e32 v0, vcc, v19, v9
	v_addc_co_u32_e32 v10, vcc, v20, v10, vcc
	v_add_co_u32_e32 v9, vcc, v38, v0
	v_addc_co_u32_e32 v10, vcc, v39, v10, vcc
	s_mov_b64 s[58:59], 0
.LBB2_112:                              ;   Parent Loop BB2_24 Depth=1
                                        ;     Parent Loop BB2_71 Depth=2
                                        ; =>    This Inner Loop Header: Depth=3
	v_mov_b32_e32 v19, v17
	v_mov_b32_e32 v20, v18
	v_add_u32_e32 v2, v2, v1
	global_store_dwordx4 v[9:10], v[17:20], off
	v_add_co_u32_e32 v9, vcc, v9, v5
	v_cmp_le_i32_e64 s[20:21], s94, v2
	s_or_b64 s[58:59], s[20:21], s[58:59]
	v_addc_co_u32_e32 v10, vcc, v10, v6, vcc
	s_andn2_b64 exec, exec, s[58:59]
	s_cbranch_execnz .LBB2_112
	s_branch .LBB2_70
.LBB2_113:                              ;   in Loop: Header=BB2_71 Depth=2
	buffer_load_dword v30, off, s[0:3], s32 offset:72 ; 4-byte Folded Reload
	buffer_load_dword v31, off, s[0:3], s32 offset:76 ; 4-byte Folded Reload
	s_waitcnt vmcnt(0) lgkmcnt(0)
	v_ashrrev_i32_e32 v0, 31, v17
	v_mul_lo_u32 v2, v43, v17
	v_mad_u64_u32 v[9:10], s[20:21], v42, v17, 0
	v_mul_lo_u32 v0, v42, v0
	v_add_u32_e32 v40, 1, v36
	s_mov_b64 s[58:59], 0
	v_mov_b32_e32 v26, v34
	v_add3_u32 v10, v10, v0, v2
	v_and_b32_e32 v0, 7, v36
	v_mul_lo_u32 v19, v0, s94
	v_and_b32_e32 v0, 7, v28
	v_lshlrev_b64 v[9:10], 2, v[9:10]
	v_mul_lo_u32 v21, v0, s94
	v_ashrrev_i32_e32 v20, 31, v19
	v_add_co_u32_e32 v9, vcc, v41, v9
	v_lshlrev_b64 v[19:20], 4, v[19:20]
	v_addc_co_u32_e32 v10, vcc, v7, v10, vcc
	v_ashrrev_i32_e32 v22, 31, v21
	v_mov_b32_e32 v2, v4
                                        ; implicit-def: $vgpr44_vgpr45
	v_add_co_u32_e32 v17, vcc, v30, v19
	v_addc_co_u32_e32 v0, vcc, v31, v20, vcc
	v_lshlrev_b64 v[19:20], 4, v[21:22]
	v_add_co_u32_e32 v50, vcc, v38, v19
	v_addc_co_u32_e32 v51, vcc, v39, v20, vcc
	s_branch .LBB2_117
.LBB2_114:                              ;   in Loop: Header=BB2_117 Depth=3
	s_or_b64 exec, exec, s[20:21]
.LBB2_115:                              ;   in Loop: Header=BB2_117 Depth=3
	s_or_b64 exec, exec, s[62:63]
.LBB2_116:                              ;   in Loop: Header=BB2_117 Depth=3
	s_or_b64 exec, exec, s[60:61]
	v_lshlrev_b64 v[30:31], 2, v[56:57]
	s_waitcnt vmcnt(0)
	v_mad_u64_u32 v[19:20], s[20:21], v35, v27, v[19:20]
	v_add_co_u32_e32 v9, vcc, v9, v30
	v_addc_co_u32_e32 v10, vcc, v10, v31, vcc
	v_mad_u64_u32 v[21:22], s[20:21], v45, v27, v[21:22]
	v_add_co_u32_e32 v30, vcc, v50, v46
	v_addc_co_u32_e32 v31, vcc, v51, v47, vcc
	v_sub_u32_e32 v26, v26, v56
	v_cmp_gt_i32_e32 vcc, 1, v26
	v_mov_b32_e32 v20, v18
	v_mov_b32_e32 v22, v18
	s_or_b64 s[58:59], vcc, s[58:59]
	v_add_u32_e32 v2, v2, v1
	global_store_dwordx4 v[30:31], v[19:22], off
	s_andn2_b64 exec, exec, s[58:59]
	s_cbranch_execz .LBB2_129
.LBB2_117:                              ;   Parent Loop BB2_24 Depth=1
                                        ;     Parent Loop BB2_71 Depth=2
                                        ; =>    This Loop Header: Depth=3
                                        ;         Child Loop BB2_123 Depth 4
	global_load_dword v35, v[9:10], off glc slc
	v_cmp_ne_u32_e32 vcc, 1, v26
	s_and_saveexec_b64 s[20:21], vcc
	s_cbranch_execz .LBB2_119
; %bb.118:                              ;   in Loop: Header=BB2_117 Depth=3
	global_load_dword v45, v[9:10], off offset:4 glc slc
.LBB2_119:                              ;   in Loop: Header=BB2_117 Depth=3
	s_or_b64 exec, exec, s[20:21]
	v_lshlrev_b64 v[46:47], 4, v[2:3]
	v_add_co_u32_e32 v58, vcc, v17, v46
	v_addc_co_u32_e32 v59, vcc, v0, v47, vcc
	global_load_dwordx4 v[19:22], v[58:59], off glc slc
	v_cmp_eq_u32_e32 vcc, 0, v25
	v_mov_b32_e32 v25, 1
	s_and_saveexec_b64 s[60:61], vcc
	s_cbranch_execz .LBB2_116
; %bb.120:                              ;   in Loop: Header=BB2_117 Depth=3
	s_waitcnt vmcnt(0)
	v_cmp_ne_u32_e32 vcc, v40, v20
	v_cmp_ne_u32_e64 s[20:21], v40, v22
	s_or_b64 s[20:21], vcc, s[20:21]
	v_mov_b32_e32 v25, 0
	s_and_saveexec_b64 s[62:63], s[20:21]
	s_cbranch_execz .LBB2_115
; %bb.121:                              ;   in Loop: Header=BB2_117 Depth=3
	s_mov_b32 s28, 1
	s_mov_b64 s[74:75], 0
                                        ; implicit-def: $sgpr72_sgpr73
                                        ; implicit-def: $sgpr76_sgpr77
	s_branch .LBB2_123
.LBB2_122:                              ;   in Loop: Header=BB2_123 Depth=4
	s_or_b64 exec, exec, s[88:89]
	s_and_b64 s[20:21], exec, s[20:21]
	s_or_b64 s[74:75], s[20:21], s[74:75]
	s_andn2_b64 s[20:21], s[72:73], exec
	s_and_b64 s[72:73], s[76:77], exec
	s_or_b64 s[72:73], s[20:21], s[72:73]
	s_andn2_b64 exec, exec, s[74:75]
	s_cbranch_execz .LBB2_127
.LBB2_123:                              ;   Parent Loop BB2_24 Depth=1
                                        ;     Parent Loop BB2_71 Depth=2
                                        ;       Parent Loop BB2_117 Depth=3
                                        ; =>      This Inner Loop Header: Depth=4
	global_load_dwordx4 v[19:22], v[58:59], off glc slc
	s_add_i32 s28, s28, 1
	s_mov_b64 s[20:21], -1
	s_cmpk_lg_i32 s28, 0x2710
	s_mov_b64 s[78:79], -1
                                        ; implicit-def: $vgpr44
	s_cbranch_scc0 .LBB2_125
; %bb.124:                              ;   in Loop: Header=BB2_123 Depth=4
	s_or_b64 s[76:77], s[76:77], exec
	s_and_saveexec_b64 s[88:89], s[78:79]
	s_cbranch_execz .LBB2_122
	s_branch .LBB2_126
.LBB2_125:                              ;   in Loop: Header=BB2_123 Depth=4
	s_trap 2
	ds_read_b64 v[30:31], v0
	s_mov_b32 s28, 0
	s_waitcnt vmcnt(0) lgkmcnt(0)
	flat_load_dword v44, v[30:31] glc
	s_waitcnt vmcnt(0) lgkmcnt(0)
	buffer_wbinvl1_vol
	v_cmp_eq_u32_e32 vcc, 0, v44
	s_orn2_b64 s[78:79], vcc, exec
	s_or_b64 s[76:77], s[76:77], exec
	s_and_saveexec_b64 s[88:89], s[78:79]
	s_cbranch_execz .LBB2_122
.LBB2_126:                              ;   in Loop: Header=BB2_123 Depth=4
	s_waitcnt vmcnt(0)
	v_cmp_eq_u32_e32 vcc, v40, v20
	v_cmp_eq_u32_e64 s[20:21], v40, v22
	s_and_b64 s[20:21], vcc, s[20:21]
	s_andn2_b64 s[76:77], s[76:77], exec
	s_orn2_b64 s[20:21], s[20:21], exec
	s_branch .LBB2_122
.LBB2_127:                              ;   in Loop: Header=BB2_117 Depth=3
	s_or_b64 exec, exec, s[74:75]
	v_mov_b32_e32 v25, 0
	s_and_saveexec_b64 s[20:21], s[72:73]
	s_xor_b64 s[20:21], exec, s[20:21]
	s_cbranch_execz .LBB2_114
; %bb.128:                              ;   in Loop: Header=BB2_117 Depth=3
	v_mov_b32_e32 v25, 1
	ds_write_b32 v0, v44
	s_trap 2
	s_branch .LBB2_114
.LBB2_129:                              ;   in Loop: Header=BB2_71 Depth=2
	s_or_b64 exec, exec, s[58:59]
	s_or_b64 exec, exec, s[56:57]
	s_and_saveexec_b64 s[20:21], s[10:11]
	s_cbranch_execz .LBB2_108
.LBB2_130:                              ;   in Loop: Header=BB2_71 Depth=2
	s_and_saveexec_b64 s[56:57], s[42:43]
	s_xor_b64 s[56:57], exec, s[56:57]
	s_cbranch_execz .LBB2_145
; %bb.131:                              ;   in Loop: Header=BB2_71 Depth=2
	s_and_saveexec_b64 s[58:59], s[12:13]
	s_cbranch_execz .LBB2_144
; %bb.132:                              ;   in Loop: Header=BB2_71 Depth=2
	s_mov_b64 s[62:63], exec
	v_mbcnt_lo_u32_b32 v0, s62, 0
	v_mbcnt_hi_u32_b32 v0, s63, v0
	v_cmp_eq_u32_e32 vcc, 0, v0
	s_waitcnt vmcnt(0) lgkmcnt(0)
	buffer_wbinvl1_vol
	s_and_saveexec_b64 s[60:61], vcc
	s_cbranch_execz .LBB2_134
; %bb.133:                              ;   in Loop: Header=BB2_71 Depth=2
	s_bcnt1_i32_b64 s28, s[62:63]
	v_mov_b32_e32 v9, s28
	v_mov_b32_e32 v10, v3
	ds_add_u64 v0, v[9:10]
	s_trap 2
.LBB2_134:                              ;   in Loop: Header=BB2_71 Depth=2
	s_or_b64 exec, exec, s[60:61]
	s_trap 2
	ds_read_b64 v[9:10], v0
	s_waitcnt lgkmcnt(0)
	buffer_load_dword v0, off, s[0:3], s32 offset:84 ; 4-byte Folded Reload
	s_waitcnt vmcnt(0)
	v_add_co_u32_e32 v60, vcc, v60, v0
	v_addc_co_u32_e32 v61, vcc, 0, v61, vcc
	v_cmp_lt_u64_e32 vcc, v[9:10], v[60:61]
	s_and_saveexec_b64 s[60:61], vcc
	s_cbranch_execz .LBB2_143
; %bb.135:                              ;   in Loop: Header=BB2_71 Depth=2
	s_mov_b32 s28, 0
	s_mov_b64 s[62:63], 0
                                        ; implicit-def: $sgpr72_sgpr73
                                        ; implicit-def: $sgpr74_sgpr75
	s_branch .LBB2_137
.LBB2_136:                              ;   in Loop: Header=BB2_137 Depth=3
	s_or_b64 exec, exec, s[78:79]
	s_and_b64 s[76:77], exec, s[88:89]
	s_or_b64 s[62:63], s[76:77], s[62:63]
	s_andn2_b64 s[72:73], s[72:73], exec
	s_and_b64 s[76:77], s[74:75], exec
	s_or_b64 s[72:73], s[72:73], s[76:77]
	s_andn2_b64 exec, exec, s[62:63]
	s_cbranch_execz .LBB2_141
.LBB2_137:                              ;   Parent Loop BB2_24 Depth=1
                                        ;     Parent Loop BB2_71 Depth=2
                                        ; =>    This Inner Loop Header: Depth=3
	s_add_i32 s28, s28, 1
	s_cmpk_lg_i32 s28, 0x2710
	s_cselect_b64 s[76:77], -1, 0
	s_and_b64 vcc, exec, s[76:77]
	s_cbranch_vccz .LBB2_139
; %bb.138:                              ;   in Loop: Header=BB2_137 Depth=3
	s_mov_b64 s[88:89], -1
	s_or_b64 s[74:75], s[74:75], exec
	s_and_saveexec_b64 s[78:79], s[76:77]
	s_cbranch_execz .LBB2_136
	s_branch .LBB2_140
.LBB2_139:                              ;   in Loop: Header=BB2_137 Depth=3
	s_trap 2
	ds_read_b64 v[9:10], v0
	s_andn2_b64 s[76:77], s[76:77], exec
	s_mov_b32 s28, 0
	s_waitcnt lgkmcnt(0)
	flat_load_dword v0, v[9:10] glc
	s_waitcnt vmcnt(0) lgkmcnt(0)
	buffer_wbinvl1_vol
	v_cmp_eq_u32_e32 vcc, 0, v0
	s_and_b64 s[78:79], vcc, exec
	s_or_b64 s[76:77], s[76:77], s[78:79]
	s_mov_b64 s[88:89], -1
	s_or_b64 s[74:75], s[74:75], exec
	s_and_saveexec_b64 s[78:79], s[76:77]
	s_cbranch_execz .LBB2_136
.LBB2_140:                              ;   in Loop: Header=BB2_137 Depth=3
	s_sleep 1
	s_trap 2
	ds_read_b64 v[9:10], v0
	s_waitcnt lgkmcnt(0)
	s_andn2_b64 s[74:75], s[74:75], exec
	v_cmp_ge_u64_e32 vcc, v[9:10], v[60:61]
	s_orn2_b64 s[88:89], vcc, exec
	s_branch .LBB2_136
.LBB2_141:                              ;   in Loop: Header=BB2_71 Depth=2
	s_or_b64 exec, exec, s[62:63]
	s_and_saveexec_b64 s[62:63], s[72:73]
	s_xor_b64 s[62:63], exec, s[62:63]
	s_cbranch_execz .LBB2_143
; %bb.142:                              ;   in Loop: Header=BB2_71 Depth=2
	v_mov_b32_e32 v0, 1
	ds_write_b32 v0, v0
	s_trap 2
.LBB2_143:                              ;   in Loop: Header=BB2_71 Depth=2
	s_or_b64 exec, exec, s[60:61]
	;;#ASMSTART
	s_wakeup
	;;#ASMEND
.LBB2_144:                              ;   in Loop: Header=BB2_71 Depth=2
	s_or_b64 exec, exec, s[58:59]
.LBB2_145:                              ;   in Loop: Header=BB2_71 Depth=2
	s_andn2_saveexec_b64 s[56:57], s[56:57]
	s_cbranch_execz .LBB2_147
; %bb.146:                              ;   in Loop: Header=BB2_71 Depth=2
	s_waitcnt vmcnt(0) lgkmcnt(0)
	buffer_wbinvl1_vol
	s_barrier
.LBB2_147:                              ;   in Loop: Header=BB2_71 Depth=2
	s_or_b64 exec, exec, s[56:57]
	s_or_b64 exec, exec, s[20:21]
	s_and_saveexec_b64 s[20:21], s[14:15]
	s_cbranch_execnz .LBB2_109
	s_branch .LBB2_110
.LBB2_148:                              ;   in Loop: Header=BB2_24 Depth=1
	v_mov_b32_e32 v21, v28
	v_mov_b32_e32 v22, v29
	s_and_saveexec_b64 s[56:57], s[18:19]
	s_cbranch_execnz .LBB2_150
	s_branch .LBB2_173
.LBB2_149:                              ;   in Loop: Header=BB2_24 Depth=1
	buffer_load_dword v50, off, s[0:3], s32 offset:112 ; 4-byte Folded Reload
	buffer_load_dword v51, off, s[0:3], s32 offset:116 ; 4-byte Folded Reload
	;; [unrolled: 1-line block ×5, first 2 shown]
	v_mov_b32_e32 v21, v28
	v_mov_b32_e32 v22, v29
	s_and_saveexec_b64 s[56:57], s[18:19]
	s_cbranch_execz .LBB2_173
.LBB2_150:                              ;   in Loop: Header=BB2_24 Depth=1
	flat_load_dword v0, v[23:24]
	s_waitcnt lgkmcnt(0)
	buffer_load_dword v17, off, s[0:3], s32 offset:144 ; 4-byte Folded Reload
	buffer_load_dword v18, off, s[0:3], s32 offset:148 ; 4-byte Folded Reload
	;; [unrolled: 1-line block ×4, first 2 shown]
	s_waitcnt vmcnt(0)
	v_mov_b32_e32 v31, v8
	v_mov_b32_e32 v30, v7
	v_add_u32_e32 v40, 1, v36
	s_mov_b64 s[58:59], 0
	v_ashrrev_i32_e32 v2, 31, v0
	v_mul_lo_u32 v9, v43, v0
	v_mul_lo_u32 v2, v42, v2
	v_mad_u64_u32 v[7:8], s[18:19], v42, v0, 0
	v_add3_u32 v8, v8, v2, v9
	v_mov_b32_e32 v9, v19
	v_mov_b32_e32 v10, v20
	v_add_co_u32_e32 v0, vcc, v9, v30
	v_lshlrev_b64 v[7:8], 2, v[7:8]
	v_addc_co_u32_e32 v2, vcc, v10, v31, vcc
	v_add_co_u32_e32 v0, vcc, v0, v7
	v_addc_co_u32_e32 v2, vcc, v2, v8, vcc
	buffer_load_dword v7, off, s[0:3], s32 offset:160 ; 4-byte Folded Reload
	buffer_load_dword v8, off, s[0:3], s32 offset:164 ; 4-byte Folded Reload
	s_waitcnt vmcnt(1)
	v_add_co_u32_e32 v28, vcc, v0, v7
	buffer_load_dword v0, off, s[0:3], s32 offset:176 ; 4-byte Folded Reload
	s_waitcnt vmcnt(1)
	v_addc_co_u32_e32 v29, vcc, v2, v8, vcc
	v_mov_b32_e32 v2, v4
	s_waitcnt vmcnt(0)
	v_add_co_u32_e32 v30, vcc, v0, v30
	buffer_load_dword v0, off, s[0:3], s32 offset:180 ; 4-byte Folded Reload
	buffer_load_dword v9, off, s[0:3], s32 offset:72 ; 4-byte Folded Reload
	;; [unrolled: 1-line block ×3, first 2 shown]
	s_waitcnt vmcnt(2)
	v_addc_co_u32_e32 v31, vcc, v0, v31, vcc
	v_and_b32_e32 v0, 7, v36
	v_mul_lo_u32 v7, v0, s94
	v_ashrrev_i32_e32 v8, 31, v7
	v_lshlrev_b64 v[7:8], 4, v[7:8]
	s_waitcnt vmcnt(1)
	v_add_co_u32_e32 v7, vcc, v9, v7
	s_waitcnt vmcnt(0)
	v_addc_co_u32_e32 v8, vcc, v10, v8, vcc
                                        ; implicit-def: $vgpr9_vgpr10
	s_branch .LBB2_152
.LBB2_151:                              ;   in Loop: Header=BB2_152 Depth=2
	v_lshlrev_b64 v[17:18], 2, v[56:57]
	v_sub_u32_e32 v34, v34, v56
	v_add_co_u32_e32 v28, vcc, v28, v17
	v_addc_co_u32_e32 v29, vcc, v29, v18, vcc
	v_add_co_u32_e32 v30, vcc, v30, v17
	v_addc_co_u32_e32 v31, vcc, v31, v18, vcc
	v_cmp_gt_i32_e32 vcc, 1, v34
	s_or_b64 s[58:59], vcc, s[58:59]
	v_add_u32_e32 v2, v2, v1
	s_andn2_b64 exec, exec, s[58:59]
	s_cbranch_execz .LBB2_172
.LBB2_152:                              ;   Parent Loop BB2_24 Depth=1
                                        ; =>  This Loop Header: Depth=2
                                        ;       Child Loop BB2_158 Depth 3
	global_load_dword v0, v[28:29], off glc slc
	v_cmp_ne_u32_e32 vcc, 1, v34
	s_and_saveexec_b64 s[18:19], vcc
	s_cbranch_execz .LBB2_154
; %bb.153:                              ;   in Loop: Header=BB2_152 Depth=2
	global_load_dword v10, v[28:29], off offset:4 glc slc
.LBB2_154:                              ;   in Loop: Header=BB2_152 Depth=2
	s_or_b64 exec, exec, s[18:19]
	v_lshlrev_b64 v[17:18], 4, v[2:3]
	v_add_co_u32_e64 v44, s[18:19], v7, v17
	v_addc_co_u32_e64 v45, s[18:19], v8, v18, s[18:19]
	global_load_dwordx4 v[17:20], v[44:45], off glc slc
	v_cmp_eq_u32_e64 s[18:19], 0, v25
	v_mov_b32_e32 v25, 1
	s_and_saveexec_b64 s[60:61], s[18:19]
	s_cbranch_execz .LBB2_166
; %bb.155:                              ;   in Loop: Header=BB2_152 Depth=2
	s_waitcnt vmcnt(0)
	v_cmp_ne_u32_e64 s[18:19], v40, v18
	v_cmp_ne_u32_e64 s[20:21], v40, v20
	s_or_b64 s[18:19], s[18:19], s[20:21]
	v_mov_b32_e32 v25, 0
	s_and_saveexec_b64 s[62:63], s[18:19]
	s_cbranch_execz .LBB2_165
; %bb.156:                              ;   in Loop: Header=BB2_152 Depth=2
	s_mov_b32 s28, 1
	s_mov_b64 s[74:75], 0
                                        ; implicit-def: $sgpr72_sgpr73
                                        ; implicit-def: $sgpr76_sgpr77
	s_branch .LBB2_158
.LBB2_157:                              ;   in Loop: Header=BB2_158 Depth=3
	s_or_b64 exec, exec, s[78:79]
	s_and_b64 s[18:19], exec, s[20:21]
	s_or_b64 s[74:75], s[18:19], s[74:75]
	s_andn2_b64 s[18:19], s[72:73], exec
	s_and_b64 s[20:21], s[76:77], exec
	s_or_b64 s[72:73], s[18:19], s[20:21]
	s_andn2_b64 exec, exec, s[74:75]
	s_cbranch_execz .LBB2_162
.LBB2_158:                              ;   Parent Loop BB2_24 Depth=1
                                        ;     Parent Loop BB2_152 Depth=2
                                        ; =>    This Inner Loop Header: Depth=3
	global_load_dwordx4 v[17:20], v[44:45], off glc slc
	s_add_i32 s28, s28, 1
	s_mov_b64 s[20:21], -1
	s_cmpk_lg_i32 s28, 0x2710
	s_mov_b64 s[18:19], -1
                                        ; implicit-def: $vgpr9
	s_cbranch_scc0 .LBB2_160
; %bb.159:                              ;   in Loop: Header=BB2_158 Depth=3
	s_or_b64 s[76:77], s[76:77], exec
	s_and_saveexec_b64 s[78:79], s[18:19]
	s_cbranch_execz .LBB2_157
	s_branch .LBB2_161
.LBB2_160:                              ;   in Loop: Header=BB2_158 Depth=3
	s_trap 2
	ds_read_b64 v[25:26], v0
	s_mov_b32 s28, 0
	s_waitcnt vmcnt(0) lgkmcnt(0)
	flat_load_dword v9, v[25:26] glc
	s_waitcnt vmcnt(0) lgkmcnt(0)
	buffer_wbinvl1_vol
	v_cmp_eq_u32_e64 s[18:19], 0, v9
	s_orn2_b64 s[18:19], s[18:19], exec
	s_or_b64 s[76:77], s[76:77], exec
	s_and_saveexec_b64 s[78:79], s[18:19]
	s_cbranch_execz .LBB2_157
.LBB2_161:                              ;   in Loop: Header=BB2_158 Depth=3
	s_waitcnt vmcnt(0)
	v_cmp_eq_u32_e64 s[18:19], v40, v18
	v_cmp_eq_u32_e64 s[20:21], v40, v20
	s_and_b64 s[18:19], s[18:19], s[20:21]
	s_andn2_b64 s[76:77], s[76:77], exec
	s_orn2_b64 s[20:21], s[18:19], exec
	s_branch .LBB2_157
.LBB2_162:                              ;   in Loop: Header=BB2_152 Depth=2
	s_or_b64 exec, exec, s[74:75]
	v_mov_b32_e32 v25, 0
	s_and_saveexec_b64 s[18:19], s[72:73]
	s_xor_b64 s[18:19], exec, s[18:19]
	s_cbranch_execz .LBB2_164
; %bb.163:                              ;   in Loop: Header=BB2_152 Depth=2
	v_mov_b32_e32 v25, 1
	ds_write_b32 v0, v9
	s_trap 2
.LBB2_164:                              ;   in Loop: Header=BB2_152 Depth=2
	s_or_b64 exec, exec, s[18:19]
.LBB2_165:                              ;   in Loop: Header=BB2_152 Depth=2
	s_or_b64 exec, exec, s[62:63]
.LBB2_166:                              ;   in Loop: Header=BB2_152 Depth=2
	s_or_b64 exec, exec, s[60:61]
	s_waitcnt vmcnt(0)
	v_mad_u64_u32 v[18:19], s[18:19], v10, v27, v[19:20]
	v_mad_u64_u32 v[19:20], s[18:19], v0, v27, v[17:18]
	v_cmp_ne_u32_e64 s[18:19], 1, v34
	s_and_b64 s[18:19], s[16:17], s[18:19]
	v_cndmask_b32_e64 v0, 0, 1, s[18:19]
	v_cmp_ne_u32_e64 s[18:19], 0, v0
	s_cmp_lg_u64 s[18:19], exec
	s_mov_b64 s[18:19], -1
	s_cbranch_scc0 .LBB2_170
; %bb.167:                              ;   in Loop: Header=BB2_152 Depth=2
	flat_store_dword v[30:31], v19
	s_and_saveexec_b64 s[18:19], vcc
	s_cbranch_execz .LBB2_169
; %bb.168:                              ;   in Loop: Header=BB2_152 Depth=2
	flat_store_dword v[30:31], v18 offset:4
.LBB2_169:                              ;   in Loop: Header=BB2_152 Depth=2
	s_or_b64 exec, exec, s[18:19]
	s_mov_b64 s[18:19], 0
.LBB2_170:                              ;   in Loop: Header=BB2_152 Depth=2
	s_andn2_b64 vcc, exec, s[18:19]
	s_cbranch_vccnz .LBB2_151
; %bb.171:                              ;   in Loop: Header=BB2_152 Depth=2
	v_mov_b32_e32 v20, v18
	global_store_dwordx2 v[30:31], v[19:20], off
	s_branch .LBB2_151
.LBB2_172:                              ;   in Loop: Header=BB2_24 Depth=1
	s_or_b64 exec, exec, s[58:59]
	buffer_load_dword v50, off, s[0:3], s32 offset:112 ; 4-byte Folded Reload
	buffer_load_dword v51, off, s[0:3], s32 offset:116 ; 4-byte Folded Reload
.LBB2_173:                              ;   in Loop: Header=BB2_24 Depth=1
	s_or_b64 exec, exec, s[56:57]
	buffer_load_dword v7, off, s[0:3], s32 offset:88 ; 4-byte Folded Reload
	buffer_load_dword v8, off, s[0:3], s32 offset:92 ; 4-byte Folded Reload
	;; [unrolled: 1-line block ×4, first 2 shown]
	s_and_saveexec_b64 s[18:19], s[10:11]
	s_cbranch_execz .LBB2_192
; %bb.174:                              ;   in Loop: Header=BB2_24 Depth=1
	s_and_saveexec_b64 s[20:21], s[42:43]
	s_xor_b64 s[20:21], exec, s[20:21]
	s_cbranch_execz .LBB2_189
; %bb.175:                              ;   in Loop: Header=BB2_24 Depth=1
	s_and_saveexec_b64 s[56:57], s[12:13]
	s_cbranch_execz .LBB2_188
; %bb.176:                              ;   in Loop: Header=BB2_24 Depth=1
	s_mov_b64 s[60:61], exec
	v_mbcnt_lo_u32_b32 v0, s60, 0
	v_mbcnt_hi_u32_b32 v0, s61, v0
	v_cmp_eq_u32_e32 vcc, 0, v0
	s_waitcnt vmcnt(0) lgkmcnt(0)
	buffer_wbinvl1_vol
	s_and_saveexec_b64 s[58:59], vcc
	s_cbranch_execz .LBB2_178
; %bb.177:                              ;   in Loop: Header=BB2_24 Depth=1
	s_bcnt1_i32_b64 s28, s[60:61]
	v_mov_b32_e32 v2, s28
	ds_add_u64 v0, v[2:3]
	s_trap 2
.LBB2_178:                              ;   in Loop: Header=BB2_24 Depth=1
	s_or_b64 exec, exec, s[58:59]
	s_trap 2
	ds_read_b64 v[7:8], v0
	s_waitcnt lgkmcnt(0)
	buffer_load_dword v0, off, s[0:3], s32 offset:84 ; 4-byte Folded Reload
	s_waitcnt vmcnt(0)
	v_add_co_u32_e32 v60, vcc, v60, v0
	v_addc_co_u32_e32 v61, vcc, 0, v61, vcc
	v_cmp_lt_u64_e32 vcc, v[7:8], v[60:61]
	s_and_saveexec_b64 s[58:59], vcc
	s_cbranch_execz .LBB2_187
; %bb.179:                              ;   in Loop: Header=BB2_24 Depth=1
	s_mov_b32 s28, 0
	s_mov_b64 s[60:61], 0
                                        ; implicit-def: $sgpr62_sgpr63
                                        ; implicit-def: $sgpr72_sgpr73
	s_branch .LBB2_181
.LBB2_180:                              ;   in Loop: Header=BB2_181 Depth=2
	s_or_b64 exec, exec, s[76:77]
	s_and_b64 s[74:75], exec, s[78:79]
	s_or_b64 s[60:61], s[74:75], s[60:61]
	s_andn2_b64 s[62:63], s[62:63], exec
	s_and_b64 s[74:75], s[72:73], exec
	s_or_b64 s[62:63], s[62:63], s[74:75]
	s_andn2_b64 exec, exec, s[60:61]
	s_cbranch_execz .LBB2_185
.LBB2_181:                              ;   Parent Loop BB2_24 Depth=1
                                        ; =>  This Inner Loop Header: Depth=2
	s_add_i32 s28, s28, 1
	s_cmpk_lg_i32 s28, 0x2710
	s_cselect_b64 s[74:75], -1, 0
	s_and_b64 vcc, exec, s[74:75]
	s_cbranch_vccz .LBB2_183
; %bb.182:                              ;   in Loop: Header=BB2_181 Depth=2
	s_mov_b64 s[78:79], -1
	s_or_b64 s[72:73], s[72:73], exec
	s_and_saveexec_b64 s[76:77], s[74:75]
	s_cbranch_execz .LBB2_180
	s_branch .LBB2_184
.LBB2_183:                              ;   in Loop: Header=BB2_181 Depth=2
	s_trap 2
	ds_read_b64 v[7:8], v0
	s_andn2_b64 s[74:75], s[74:75], exec
	s_mov_b32 s28, 0
	s_waitcnt lgkmcnt(0)
	flat_load_dword v0, v[7:8] glc
	s_waitcnt vmcnt(0) lgkmcnt(0)
	buffer_wbinvl1_vol
	v_cmp_eq_u32_e32 vcc, 0, v0
	s_and_b64 s[76:77], vcc, exec
	s_or_b64 s[74:75], s[74:75], s[76:77]
	s_mov_b64 s[78:79], -1
	s_or_b64 s[72:73], s[72:73], exec
	s_and_saveexec_b64 s[76:77], s[74:75]
	s_cbranch_execz .LBB2_180
.LBB2_184:                              ;   in Loop: Header=BB2_181 Depth=2
	s_sleep 1
	s_trap 2
	ds_read_b64 v[7:8], v0
	s_waitcnt lgkmcnt(0)
	s_andn2_b64 s[72:73], s[72:73], exec
	v_cmp_ge_u64_e32 vcc, v[7:8], v[60:61]
	s_orn2_b64 s[78:79], vcc, exec
	s_branch .LBB2_180
.LBB2_185:                              ;   in Loop: Header=BB2_24 Depth=1
	s_or_b64 exec, exec, s[60:61]
	s_and_saveexec_b64 s[60:61], s[62:63]
	s_xor_b64 s[60:61], exec, s[60:61]
	s_cbranch_execz .LBB2_187
; %bb.186:                              ;   in Loop: Header=BB2_24 Depth=1
	v_mov_b32_e32 v0, 1
	ds_write_b32 v0, v0
	s_trap 2
.LBB2_187:                              ;   in Loop: Header=BB2_24 Depth=1
	s_or_b64 exec, exec, s[58:59]
	;;#ASMSTART
	s_wakeup
	;;#ASMEND
.LBB2_188:                              ;   in Loop: Header=BB2_24 Depth=1
	s_or_b64 exec, exec, s[56:57]
.LBB2_189:                              ;   in Loop: Header=BB2_24 Depth=1
	s_andn2_saveexec_b64 s[20:21], s[20:21]
	s_cbranch_execz .LBB2_191
; %bb.190:                              ;   in Loop: Header=BB2_24 Depth=1
	s_waitcnt vmcnt(0) lgkmcnt(0)
	buffer_wbinvl1_vol
	s_barrier
.LBB2_191:                              ;   in Loop: Header=BB2_24 Depth=1
	s_or_b64 exec, exec, s[20:21]
.LBB2_192:                              ;   in Loop: Header=BB2_24 Depth=1
	s_or_b64 exec, exec, s[18:19]
	s_and_saveexec_b64 s[18:19], s[14:15]
	s_cbranch_execz .LBB2_23
; %bb.193:                              ;   in Loop: Header=BB2_24 Depth=1
	buffer_load_dword v7, off, s[0:3], s32 offset:64 ; 4-byte Folded Reload
	buffer_load_dword v8, off, s[0:3], s32 offset:68 ; 4-byte Folded Reload
	v_add_co_u32_e32 v48, vcc, 1, v48
	v_addc_co_u32_e32 v49, vcc, 0, v49, vcc
	s_waitcnt vmcnt(0)
	flat_store_dwordx2 v[7:8], v[48:49]
	s_branch .LBB2_23
.LBB2_194:
	s_or_b64 exec, exec, s[40:41]
	buffer_load_dword v31, off, s[0:3], s32 offset:196 ; 4-byte Folded Reload
	buffer_load_dword v11, off, s[0:3], s32 offset:200 ; 4-byte Folded Reload
	buffer_load_dword v9, off, s[0:3], s32 offset:204 ; 4-byte Folded Reload
	buffer_load_dword v10, off, s[0:3], s32 offset:208 ; 4-byte Folded Reload
	buffer_load_dword v25, off, s[0:3], s32 offset:212 ; 4-byte Folded Reload
	buffer_load_dword v26, off, s[0:3], s32 offset:216 ; 4-byte Folded Reload
	s_or_b64 exec, exec, s[26:27]
	s_and_saveexec_b64 s[6:7], s[24:25]
	s_cbranch_execz .LBB2_20
.LBB2_195:
	s_waitcnt vmcnt(0) lgkmcnt(0)
	flat_store_dwordx2 v[25:26], v[48:49] offset:104
	s_or_b64 exec, exec, s[6:7]
	s_and_saveexec_b64 s[6:7], s[4:5]
	s_cbranch_execz .LBB2_21
.LBB2_196:
	s_waitcnt vmcnt(0) lgkmcnt(0)
	flat_store_dwordx2 v[9:10], v[15:16] offset:104
	s_or_b64 exec, exec, s[6:7]
	v_cmp_ne_u32_e32 vcc, 64, v1
	s_and_saveexec_b64 s[4:5], vcc
	s_cbranch_execz .LBB2_214
.LBB2_197:
	s_waitcnt vmcnt(0)
	v_cmp_ne_u32_sdwa s[6:7], v1, v11 src0_sel:DWORD src1_sel:WORD_0
	s_and_saveexec_b64 s[8:9], s[6:7]
	s_xor_b64 s[6:7], exec, s[8:9]
	s_cbranch_execz .LBB2_212
; %bb.198:
	v_and_b32_e32 v0, 63, v31
	v_cmp_eq_u32_e32 vcc, 0, v0
	s_and_saveexec_b64 s[8:9], vcc
	s_cbranch_execz .LBB2_211
; %bb.199:
	s_mov_b64 s[12:13], exec
	v_mbcnt_lo_u32_b32 v0, s12, 0
	v_mbcnt_hi_u32_b32 v0, s13, v0
	v_cmp_eq_u32_e32 vcc, 0, v0
	s_waitcnt lgkmcnt(0)
	buffer_wbinvl1_vol
	s_and_saveexec_b64 s[10:11], vcc
	s_cbranch_execz .LBB2_201
; %bb.200:
	s_bcnt1_i32_b64 s12, s[12:13]
	v_mov_b32_e32 v2, s12
	v_mov_b32_e32 v3, 0
	ds_add_u64 v0, v[2:3]
	s_trap 2
.LBB2_201:
	s_or_b64 exec, exec, s[10:11]
	v_lshrrev_b32_e32 v0, 6, v1
	s_trap 2
	ds_read_b64 v[2:3], v0
	s_waitcnt lgkmcnt(0)
	v_add_co_u32_e32 v0, vcc, v60, v0
	v_addc_co_u32_e32 v1, vcc, 0, v61, vcc
	v_cmp_lt_u64_e32 vcc, v[2:3], v[0:1]
	s_and_saveexec_b64 s[10:11], vcc
	s_cbranch_execz .LBB2_210
; %bb.202:
	s_mov_b32 s24, 0
	s_mov_b64 s[12:13], 0
                                        ; implicit-def: $sgpr14_sgpr15
                                        ; implicit-def: $sgpr16_sgpr17
	s_branch .LBB2_204
.LBB2_203:                              ;   in Loop: Header=BB2_204 Depth=1
	s_or_b64 exec, exec, s[20:21]
	s_and_b64 s[18:19], exec, s[22:23]
	s_or_b64 s[12:13], s[18:19], s[12:13]
	s_andn2_b64 s[14:15], s[14:15], exec
	s_and_b64 s[18:19], s[16:17], exec
	s_or_b64 s[14:15], s[14:15], s[18:19]
	s_andn2_b64 exec, exec, s[12:13]
	s_cbranch_execz .LBB2_208
.LBB2_204:                              ; =>This Inner Loop Header: Depth=1
	s_add_i32 s24, s24, 1
	s_cmpk_lg_i32 s24, 0x2710
	s_cselect_b64 s[18:19], -1, 0
	s_and_b64 vcc, exec, s[18:19]
	s_cbranch_vccz .LBB2_206
; %bb.205:                              ;   in Loop: Header=BB2_204 Depth=1
	s_mov_b64 s[22:23], -1
	s_or_b64 s[16:17], s[16:17], exec
	s_and_saveexec_b64 s[20:21], s[18:19]
	s_cbranch_execz .LBB2_203
	s_branch .LBB2_207
.LBB2_206:                              ;   in Loop: Header=BB2_204 Depth=1
	s_trap 2
	ds_read_b64 v[2:3], v0
	s_andn2_b64 s[18:19], s[18:19], exec
	s_mov_b32 s24, 0
	s_waitcnt lgkmcnt(0)
	flat_load_dword v2, v[2:3] glc
	s_waitcnt vmcnt(0) lgkmcnt(0)
	buffer_wbinvl1_vol
	v_cmp_eq_u32_e32 vcc, 0, v2
	s_and_b64 s[20:21], vcc, exec
	s_or_b64 s[18:19], s[18:19], s[20:21]
	s_mov_b64 s[22:23], -1
	s_or_b64 s[16:17], s[16:17], exec
	s_and_saveexec_b64 s[20:21], s[18:19]
	s_cbranch_execz .LBB2_203
.LBB2_207:                              ;   in Loop: Header=BB2_204 Depth=1
	s_sleep 1
	s_trap 2
	ds_read_b64 v[2:3], v0
	s_waitcnt lgkmcnt(0)
	s_andn2_b64 s[16:17], s[16:17], exec
	v_cmp_ge_u64_e32 vcc, v[2:3], v[0:1]
	s_orn2_b64 s[22:23], vcc, exec
	s_branch .LBB2_203
.LBB2_208:
	s_or_b64 exec, exec, s[12:13]
	s_and_saveexec_b64 s[12:13], s[14:15]
	s_xor_b64 s[12:13], exec, s[12:13]
	s_cbranch_execz .LBB2_210
; %bb.209:
	v_mov_b32_e32 v0, 1
	ds_write_b32 v0, v0
	s_trap 2
.LBB2_210:
	s_or_b64 exec, exec, s[10:11]
	;;#ASMSTART
	s_wakeup
	;;#ASMEND
.LBB2_211:
	s_or_b64 exec, exec, s[8:9]
.LBB2_212:
	s_andn2_saveexec_b64 s[6:7], s[6:7]
	s_cbranch_execz .LBB2_214
; %bb.213:
	s_waitcnt lgkmcnt(0)
	buffer_wbinvl1_vol
	s_barrier
.LBB2_214:
	s_or_b64 exec, exec, s[4:5]
	buffer_load_dword v63, off, s[0:3], s32 ; 4-byte Folded Reload
	buffer_load_dword v62, off, s[0:3], s32 offset:4 ; 4-byte Folded Reload
	buffer_load_dword v61, off, s[0:3], s32 offset:8 ; 4-byte Folded Reload
	;; [unrolled: 1-line block ×15, first 2 shown]
	s_waitcnt vmcnt(0) lgkmcnt(0)
	s_setpc_b64 s[30:31]
.Lfunc_end2:
	.size	_ZN12_GLOBAL__N_17runRingIj13FuncPreMulSumIjE7ProtoLLLi0ELi2ELi0EEEviiP15ncclDevWorkColl, .Lfunc_end2-_ZN12_GLOBAL__N_17runRingIj13FuncPreMulSumIjE7ProtoLLLi0ELi2ELi0EEEviiP15ncclDevWorkColl
                                        ; -- End function
	.set .L_ZN12_GLOBAL__N_17runRingIj13FuncPreMulSumIjE7ProtoLLLi0ELi2ELi0EEEviiP15ncclDevWorkColl.num_vgpr, 64
	.set .L_ZN12_GLOBAL__N_17runRingIj13FuncPreMulSumIjE7ProtoLLLi0ELi2ELi0EEEviiP15ncclDevWorkColl.num_agpr, 0
	.set .L_ZN12_GLOBAL__N_17runRingIj13FuncPreMulSumIjE7ProtoLLLi0ELi2ELi0EEEviiP15ncclDevWorkColl.numbered_sgpr, 96
	.set .L_ZN12_GLOBAL__N_17runRingIj13FuncPreMulSumIjE7ProtoLLLi0ELi2ELi0EEEviiP15ncclDevWorkColl.num_named_barrier, 0
	.set .L_ZN12_GLOBAL__N_17runRingIj13FuncPreMulSumIjE7ProtoLLLi0ELi2ELi0EEEviiP15ncclDevWorkColl.private_seg_size, 224
	.set .L_ZN12_GLOBAL__N_17runRingIj13FuncPreMulSumIjE7ProtoLLLi0ELi2ELi0EEEviiP15ncclDevWorkColl.uses_vcc, 1
	.set .L_ZN12_GLOBAL__N_17runRingIj13FuncPreMulSumIjE7ProtoLLLi0ELi2ELi0EEEviiP15ncclDevWorkColl.uses_flat_scratch, 0
	.set .L_ZN12_GLOBAL__N_17runRingIj13FuncPreMulSumIjE7ProtoLLLi0ELi2ELi0EEEviiP15ncclDevWorkColl.has_dyn_sized_stack, 0
	.set .L_ZN12_GLOBAL__N_17runRingIj13FuncPreMulSumIjE7ProtoLLLi0ELi2ELi0EEEviiP15ncclDevWorkColl.has_recursion, 0
	.set .L_ZN12_GLOBAL__N_17runRingIj13FuncPreMulSumIjE7ProtoLLLi0ELi2ELi0EEEviiP15ncclDevWorkColl.has_indirect_call, 0
	.section	.AMDGPU.csdata,"",@progbits
; Function info:
; codeLenInByte = 7852
; TotalNumSgprs: 100
; NumVgprs: 64
; ScratchSize: 224
; MemoryBound: 0
	.text
	.p2align	2                               ; -- Begin function _Z53ncclDevFunc_ReduceScatter_RING_LL_PreMulSum_u32_0_0_2v
	.type	_Z53ncclDevFunc_ReduceScatter_RING_LL_PreMulSum_u32_0_0_2v,@function
_Z53ncclDevFunc_ReduceScatter_RING_LL_PreMulSum_u32_0_0_2v: ; @_Z53ncclDevFunc_ReduceScatter_RING_LL_PreMulSum_u32_0_0_2v
; %bb.0:
	s_waitcnt vmcnt(0) expcnt(0) lgkmcnt(0)
	s_mov_b32 s4, s33
	s_mov_b32 s33, s32
	s_or_saveexec_b64 s[6:7], -1
	buffer_store_dword v43, off, s[0:3], s33 offset:12 ; 4-byte Folded Spill
	s_mov_b64 exec, s[6:7]
	v_writelane_b32 v43, s4, 8
	s_addk_i32 s32, 0x800
	buffer_store_dword v40, off, s[0:3], s33 offset:8 ; 4-byte Folded Spill
	buffer_store_dword v41, off, s[0:3], s33 offset:4 ; 4-byte Folded Spill
	buffer_store_dword v42, off, s[0:3], s33 ; 4-byte Folded Spill
	v_writelane_b32 v43, s34, 0
	v_writelane_b32 v43, s35, 1
	;; [unrolled: 1-line block ×8, first 2 shown]
	s_trap 2
	ds_read_b32 v2, v0
	v_mov_b32_e32 v40, v31
	v_and_b32_e32 v41, 0x3ff, v40
	s_mov_b32 s36, s12
	s_mov_b64 s[34:35], s[8:9]
	s_waitcnt lgkmcnt(0)
	v_cmp_lt_i32_e32 vcc, v41, v2
	s_and_saveexec_b64 s[4:5], vcc
	s_cbranch_execz .LBB3_5
; %bb.1:
	s_load_dword s6, s[34:35], 0x0
	v_mov_b32_e32 v1, 0
	v_mov_b32_e32 v6, v41
                                        ; implicit-def: $vgpr5
	s_waitcnt lgkmcnt(0)
	s_cmp_lt_u32 s36, s6
	s_cselect_b32 s6, 12, 18
	s_add_u32 s6, s34, s6
	s_addc_u32 s7, s35, 0
	global_load_ushort v3, v1, s[6:7]
	s_trap 2
	ds_read_b32 v0, v0
	s_mov_b64 s[6:7], 0
	s_waitcnt vmcnt(0) lgkmcnt(0)
	v_mul_lo_u32 v4, v0, v3
	s_branch .LBB3_3
.LBB3_2:                                ;   in Loop: Header=BB3_3 Depth=1
	s_or_b64 exec, exec, s[8:9]
	v_add_u32_e32 v6, v6, v3
	v_cmp_ge_i32_e32 vcc, v6, v2
	s_or_b64 s[6:7], vcc, s[6:7]
	v_add_u32_e32 v5, v5, v4
	s_andn2_b64 exec, exec, s[6:7]
	s_cbranch_execz .LBB3_5
.LBB3_3:                                ; =>This Inner Loop Header: Depth=1
	ds_read_b32 v0, v5
	s_waitcnt lgkmcnt(0)
	v_and_b32_e32 v0, 0x1000000, v0
	v_cmp_ne_u32_e32 vcc, 0, v0
	s_and_saveexec_b64 s[8:9], vcc
	s_cbranch_execz .LBB3_2
; %bb.4:                                ;   in Loop: Header=BB3_3 Depth=1
	ds_read_b64 v[7:8], v5 offset:104
	s_waitcnt lgkmcnt(0)
	flat_load_dword v0, v[7:8]
	s_waitcnt vmcnt(0) lgkmcnt(0)
	ds_write_b64 v5, v[0:1] offset:104
	s_branch .LBB3_2
.LBB3_5:
	s_or_b64 exec, exec, s[4:5]
	s_waitcnt vmcnt(0) lgkmcnt(0)
	s_barrier
	s_trap 2
	ds_read_b32 v0, v0
	s_waitcnt lgkmcnt(0)
	v_cmp_gt_i32_e32 vcc, 1, v0
	s_cbranch_vccnz .LBB3_13
; %bb.6:
	s_mov_b32 s37, 0
	v_mov_b32_e32 v42, 6
	s_branch .LBB3_8
.LBB3_7:                                ;   in Loop: Header=BB3_8 Depth=1
	s_or_b64 exec, exec, s[38:39]
	s_trap 2
	ds_read_b32 v0, v0
	s_add_i32 s37, s37, 1
	s_waitcnt lgkmcnt(0)
	v_cmp_lt_i32_e32 vcc, s37, v0
	s_cbranch_vccz .LBB3_13
.LBB3_8:                                ; =>This Inner Loop Header: Depth=1
	s_trap 2
	ds_read_b32 v0, v0
	s_cmp_eq_u32 s37, 0
	s_cbranch_scc1 .LBB3_11
; %bb.9:                                ;   in Loop: Header=BB3_8 Depth=1
	s_trap 2
	s_waitcnt lgkmcnt(0)
	ds_read_b32 v1, v0
	s_waitcnt lgkmcnt(0)
	v_xor_b32_e32 v1, v1, v0
	v_and_b32_e32 v1, 0xff0000, v1
	v_cmp_eq_u32_e32 vcc, 0, v1
	s_cbranch_vccnz .LBB3_11
; %bb.10:                               ;   in Loop: Header=BB3_8 Depth=1
	s_barrier
	ds_read_b32 v0, v0
.LBB3_11:                               ;   in Loop: Header=BB3_8 Depth=1
	s_waitcnt lgkmcnt(0)
	v_lshlrev_b32_sdwa v1, v42, v0 dst_sel:DWORD dst_unused:UNUSED_PAD src0_sel:DWORD src1_sel:BYTE_2
	v_cmp_lt_u32_e32 vcc, v41, v1
	s_and_saveexec_b64 s[38:39], vcc
	s_cbranch_execz .LBB3_7
; %bb.12:                               ;   in Loop: Header=BB3_8 Depth=1
	s_mov_b64 s[4:5], src_shared_base
	s_getpc_b64 s[6:7]
	s_add_u32 s6, s6, _ZN12_GLOBAL__N_17runRingIj13FuncPreMulSumIjE7ProtoLLLi0ELi2ELi0EEEviiP15ncclDevWorkColl@rel32@lo+4
	s_addc_u32 s7, s7, _ZN12_GLOBAL__N_17runRingIj13FuncPreMulSumIjE7ProtoLLLi0ELi2ELi0EEEviiP15ncclDevWorkColl@rel32@hi+12
	s_mov_b64 s[8:9], s[34:35]
	s_mov_b32 s12, s36
	v_mov_b32_e32 v31, v40
	v_mov_b32_e32 v0, v41
	;; [unrolled: 1-line block ×3, first 2 shown]
	s_swappc_b64 s[30:31], s[6:7]
	s_branch .LBB3_7
.LBB3_13:
	buffer_load_dword v42, off, s[0:3], s33 ; 4-byte Folded Reload
	buffer_load_dword v41, off, s[0:3], s33 offset:4 ; 4-byte Folded Reload
	buffer_load_dword v40, off, s[0:3], s33 offset:8 ; 4-byte Folded Reload
	v_readlane_b32 s30, v43, 6
	v_readlane_b32 s31, v43, 7
	v_readlane_b32 s39, v43, 5
	v_readlane_b32 s38, v43, 4
	v_readlane_b32 s37, v43, 3
	v_readlane_b32 s36, v43, 2
	v_readlane_b32 s35, v43, 1
	v_readlane_b32 s34, v43, 0
	s_mov_b32 s32, s33
	v_readlane_b32 s4, v43, 8
	s_or_saveexec_b64 s[6:7], -1
	buffer_load_dword v43, off, s[0:3], s33 offset:12 ; 4-byte Folded Reload
	s_mov_b64 exec, s[6:7]
	s_mov_b32 s33, s4
	s_waitcnt vmcnt(0)
	s_setpc_b64 s[30:31]
.Lfunc_end3:
	.size	_Z53ncclDevFunc_ReduceScatter_RING_LL_PreMulSum_u32_0_0_2v, .Lfunc_end3-_Z53ncclDevFunc_ReduceScatter_RING_LL_PreMulSum_u32_0_0_2v
                                        ; -- End function
	.set .L_Z53ncclDevFunc_ReduceScatter_RING_LL_PreMulSum_u32_0_0_2v.num_vgpr, max(44, .L_ZN12_GLOBAL__N_17runRingIj13FuncPreMulSumIjE7ProtoLLLi0ELi2ELi0EEEviiP15ncclDevWorkColl.num_vgpr)
	.set .L_Z53ncclDevFunc_ReduceScatter_RING_LL_PreMulSum_u32_0_0_2v.num_agpr, max(0, .L_ZN12_GLOBAL__N_17runRingIj13FuncPreMulSumIjE7ProtoLLLi0ELi2ELi0EEEviiP15ncclDevWorkColl.num_agpr)
	.set .L_Z53ncclDevFunc_ReduceScatter_RING_LL_PreMulSum_u32_0_0_2v.numbered_sgpr, max(40, .L_ZN12_GLOBAL__N_17runRingIj13FuncPreMulSumIjE7ProtoLLLi0ELi2ELi0EEEviiP15ncclDevWorkColl.numbered_sgpr)
	.set .L_Z53ncclDevFunc_ReduceScatter_RING_LL_PreMulSum_u32_0_0_2v.num_named_barrier, max(0, .L_ZN12_GLOBAL__N_17runRingIj13FuncPreMulSumIjE7ProtoLLLi0ELi2ELi0EEEviiP15ncclDevWorkColl.num_named_barrier)
	.set .L_Z53ncclDevFunc_ReduceScatter_RING_LL_PreMulSum_u32_0_0_2v.private_seg_size, 32+max(.L_ZN12_GLOBAL__N_17runRingIj13FuncPreMulSumIjE7ProtoLLLi0ELi2ELi0EEEviiP15ncclDevWorkColl.private_seg_size)
	.set .L_Z53ncclDevFunc_ReduceScatter_RING_LL_PreMulSum_u32_0_0_2v.uses_vcc, or(1, .L_ZN12_GLOBAL__N_17runRingIj13FuncPreMulSumIjE7ProtoLLLi0ELi2ELi0EEEviiP15ncclDevWorkColl.uses_vcc)
	.set .L_Z53ncclDevFunc_ReduceScatter_RING_LL_PreMulSum_u32_0_0_2v.uses_flat_scratch, or(0, .L_ZN12_GLOBAL__N_17runRingIj13FuncPreMulSumIjE7ProtoLLLi0ELi2ELi0EEEviiP15ncclDevWorkColl.uses_flat_scratch)
	.set .L_Z53ncclDevFunc_ReduceScatter_RING_LL_PreMulSum_u32_0_0_2v.has_dyn_sized_stack, or(0, .L_ZN12_GLOBAL__N_17runRingIj13FuncPreMulSumIjE7ProtoLLLi0ELi2ELi0EEEviiP15ncclDevWorkColl.has_dyn_sized_stack)
	.set .L_Z53ncclDevFunc_ReduceScatter_RING_LL_PreMulSum_u32_0_0_2v.has_recursion, or(1, .L_ZN12_GLOBAL__N_17runRingIj13FuncPreMulSumIjE7ProtoLLLi0ELi2ELi0EEEviiP15ncclDevWorkColl.has_recursion)
	.set .L_Z53ncclDevFunc_ReduceScatter_RING_LL_PreMulSum_u32_0_0_2v.has_indirect_call, or(0, .L_ZN12_GLOBAL__N_17runRingIj13FuncPreMulSumIjE7ProtoLLLi0ELi2ELi0EEEviiP15ncclDevWorkColl.has_indirect_call)
	.section	.AMDGPU.csdata,"",@progbits
; Function info:
; codeLenInByte = 704
; TotalNumSgprs: 100
; NumVgprs: 64
; ScratchSize: 256
; MemoryBound: 0
	.text
	.p2align	2                               ; -- Begin function _ZN12_GLOBAL__N_17runRingIj13FuncPreMulSumIjE7ProtoLLLi0ELi4ELi0EEEviiP15ncclDevWorkColl
	.type	_ZN12_GLOBAL__N_17runRingIj13FuncPreMulSumIjE7ProtoLLLi0ELi4ELi0EEEviiP15ncclDevWorkColl,@function
_ZN12_GLOBAL__N_17runRingIj13FuncPreMulSumIjE7ProtoLLLi0ELi4ELi0EEEviiP15ncclDevWorkColl: ; @_ZN12_GLOBAL__N_17runRingIj13FuncPreMulSumIjE7ProtoLLLi0ELi4ELi0EEEviiP15ncclDevWorkColl
; %bb.0:
	s_waitcnt vmcnt(0) expcnt(0) lgkmcnt(0)
	buffer_store_dword v40, off, s[0:3], s32 offset:60 ; 4-byte Folded Spill
	buffer_store_dword v41, off, s[0:3], s32 offset:56 ; 4-byte Folded Spill
	buffer_store_dword v42, off, s[0:3], s32 offset:52 ; 4-byte Folded Spill
	buffer_store_dword v43, off, s[0:3], s32 offset:48 ; 4-byte Folded Spill
	buffer_store_dword v44, off, s[0:3], s32 offset:44 ; 4-byte Folded Spill
	buffer_store_dword v45, off, s[0:3], s32 offset:40 ; 4-byte Folded Spill
	buffer_store_dword v46, off, s[0:3], s32 offset:36 ; 4-byte Folded Spill
	buffer_store_dword v47, off, s[0:3], s32 offset:32 ; 4-byte Folded Spill
	buffer_store_dword v56, off, s[0:3], s32 offset:28 ; 4-byte Folded Spill
	buffer_store_dword v57, off, s[0:3], s32 offset:24 ; 4-byte Folded Spill
	buffer_store_dword v58, off, s[0:3], s32 offset:20 ; 4-byte Folded Spill
	buffer_store_dword v59, off, s[0:3], s32 offset:16 ; 4-byte Folded Spill
	buffer_store_dword v60, off, s[0:3], s32 offset:12 ; 4-byte Folded Spill
	buffer_store_dword v61, off, s[0:3], s32 offset:8 ; 4-byte Folded Spill
	buffer_store_dword v62, off, s[0:3], s32 offset:4 ; 4-byte Folded Spill
	buffer_store_dword v63, off, s[0:3], s32 ; 4-byte Folded Spill
	s_trap 2
	flat_load_dword v7, v[2:3]
	flat_load_dwordx4 v[10:13], v[2:3] offset:72
	flat_load_dwordx2 v[19:20], v[2:3] offset:88
	v_mov_b32_e32 v4, v0
	ds_read_b32 v5, v0
                                        ; implicit-def: $vgpr17_vgpr18
	s_waitcnt lgkmcnt(0)
	v_readfirstlane_b32 s22, v5
	s_waitcnt vmcnt(0)
	v_not_b32_sdwa v6, v7 dst_sel:DWORD dst_unused:UNUSED_PAD src0_sel:BYTE_0
	v_add_u32_sdwa v0, v7, v6 dst_sel:DWORD dst_unused:UNUSED_PAD src0_sel:BYTE_1 src1_sel:DWORD
	v_mul_lo_u32 v9, v13, v0
	v_mad_u64_u32 v[29:30], s[4:5], v12, v0, 0
	buffer_store_dword v10, off, s[0:3], s32 offset:88 ; 4-byte Folded Spill
	s_nop 0
	buffer_store_dword v11, off, s[0:3], s32 offset:92 ; 4-byte Folded Spill
	buffer_store_dword v12, off, s[0:3], s32 offset:96 ; 4-byte Folded Spill
	;; [unrolled: 1-line block ×3, first 2 shown]
	v_ashrrev_i32_e32 v8, 31, v0
	v_cmp_ne_u32_sdwa s[4:5], v5, v7 src0_sel:DWORD src1_sel:BYTE_0
	v_mul_lo_u32 v0, v12, v8
	ds_read_b64 v[23:24], v0
	v_add3_u32 v0, v30, v0, v9
                                        ; implicit-def: $vgpr8_vgpr9
                                        ; kill: killed $vgpr8_vgpr9
	s_and_saveexec_b64 s[6:7], s[4:5]
	s_xor_b64 s[4:5], exec, s[6:7]
	s_cbranch_execz .LBB4_6
; %bb.1:
	v_cmp_ne_u32_sdwa s[6:7], v5, v7 src0_sel:DWORD src1_sel:BYTE_1
                                        ; implicit-def: $vgpr17_vgpr18
                                        ; implicit-def: $vgpr7_vgpr8
                                        ; kill: killed $vgpr7_vgpr8
	s_and_saveexec_b64 s[10:11], s[6:7]
	s_xor_b64 s[6:7], exec, s[10:11]
	s_cbranch_execz .LBB4_3
; %bb.2:
	flat_load_dwordx2 v[7:8], v[2:3] offset:96
	buffer_load_dword v10, off, s[0:3], s32 offset:88 ; 4-byte Folded Reload
	buffer_load_dword v11, off, s[0:3], s32 offset:92 ; 4-byte Folded Reload
	;; [unrolled: 1-line block ×4, first 2 shown]
	v_add_u32_e32 v5, v5, v6
	v_ashrrev_i32_e32 v6, 31, v5
	s_waitcnt vmcnt(0)
	v_mul_lo_u32 v6, v12, v6
	v_mul_lo_u32 v9, v13, v5
	v_mad_u64_u32 v[10:11], s[10:11], v12, v5, v[10:11]
	s_waitcnt lgkmcnt(0)
	v_lshrrev_b64 v[17:18], 19, v[7:8]
	v_add3_u32 v11, v9, v11, v6
	buffer_store_dword v10, off, s[0:3], s32 offset:104 ; 4-byte Folded Spill
	s_nop 0
	buffer_store_dword v11, off, s[0:3], s32 offset:108 ; 4-byte Folded Spill
.LBB4_3:
	s_andn2_saveexec_b64 s[6:7], s[6:7]
	s_cbranch_execz .LBB4_5
; %bb.4:
	flat_load_dword v5, v[2:3] offset:100
	buffer_load_dword v6, off, s[0:3], s32 offset:88 ; 4-byte Folded Reload
	buffer_load_dword v7, off, s[0:3], s32 offset:92 ; 4-byte Folded Reload
	;; [unrolled: 1-line block ×4, first 2 shown]
	s_waitcnt vmcnt(0)
	v_add_co_u32_e32 v8, vcc, v29, v6
	v_addc_co_u32_e32 v9, vcc, v0, v7, vcc
	buffer_store_dword v8, off, s[0:3], s32 offset:104 ; 4-byte Folded Spill
	s_nop 0
	buffer_store_dword v9, off, s[0:3], s32 offset:108 ; 4-byte Folded Spill
	v_mov_b32_e32 v8, v19
	s_waitcnt lgkmcnt(0)
	v_lshrrev_b32_e32 v17, 8, v5
	v_mov_b32_e32 v9, v20
	buffer_store_dword v6, off, s[0:3], s32 offset:88 ; 4-byte Folded Spill
	s_nop 0
	buffer_store_dword v7, off, s[0:3], s32 offset:92 ; 4-byte Folded Spill
	buffer_store_dword v8, off, s[0:3], s32 offset:96 ; 4-byte Folded Spill
	;; [unrolled: 1-line block ×3, first 2 shown]
.LBB4_5:
	s_or_b64 exec, exec, s[6:7]
.LBB4_6:
	s_andn2_saveexec_b64 s[4:5], s[4:5]
	s_cbranch_execz .LBB4_8
; %bb.7:
	flat_load_dwordx2 v[5:6], v[2:3] offset:96
	s_waitcnt vmcnt(0) lgkmcnt(0)
	v_lshlrev_b64 v[17:18], 2, v[5:6]
	v_mov_b32_e32 v5, 0
	v_mov_b32_e32 v6, 0
	buffer_store_dword v5, off, s[0:3], s32 offset:104 ; 4-byte Folded Spill
	s_nop 0
	buffer_store_dword v6, off, s[0:3], s32 offset:108 ; 4-byte Folded Spill
	buffer_load_dword v5, off, s[0:3], s32 offset:88 ; 4-byte Folded Reload
	s_nop 0
	buffer_load_dword v6, off, s[0:3], s32 offset:92 ; 4-byte Folded Reload
	buffer_load_dword v7, off, s[0:3], s32 offset:96 ; 4-byte Folded Reload
	;; [unrolled: 1-line block ×3, first 2 shown]
	s_waitcnt vmcnt(0)
	v_mov_b32_e32 v8, v6
	v_mov_b32_e32 v7, v5
	buffer_store_dword v5, off, s[0:3], s32 offset:88 ; 4-byte Folded Spill
	s_nop 0
	buffer_store_dword v6, off, s[0:3], s32 offset:92 ; 4-byte Folded Spill
	buffer_store_dword v7, off, s[0:3], s32 offset:96 ; 4-byte Folded Spill
	;; [unrolled: 1-line block ×3, first 2 shown]
.LBB4_8:
	s_or_b64 exec, exec, s[4:5]
	flat_load_dwordx2 v[27:28], v[2:3] offset:104
	flat_load_ushort v6, v[2:3] offset:8
	flat_load_dword v5, v[2:3] offset:4
	flat_load_dwordx4 v[7:10], v[2:3] offset:16
	s_load_dword s4, s[8:9], 0x0
	v_mov_b32_e32 v3, 0
	s_mov_b32 s6, 0
	s_waitcnt vmcnt(0) lgkmcnt(0)
	buffer_store_dword v7, off, s[0:3], s32 offset:144 ; 4-byte Folded Spill
	s_nop 0
	buffer_store_dword v8, off, s[0:3], s32 offset:148 ; 4-byte Folded Spill
	buffer_store_dword v9, off, s[0:3], s32 offset:152 ; 4-byte Folded Spill
	;; [unrolled: 1-line block ×3, first 2 shown]
	s_cmp_lt_u32 s12, s4
	s_cselect_b32 s4, 12, 18
	s_add_u32 s4, s8, s4
	s_addc_u32 s5, s9, 0
	global_load_ushort v11, v3, s[4:5]
	s_trap 2
	ds_read_b32 v2, v0
	v_lshrrev_b64 v[5:6], 31, v[5:6]
	v_mov_b32_e32 v9, 0
	v_and_b32_e32 v6, 3, v5
	v_and_b32_e32 v5, 63, v4
	s_waitcnt lgkmcnt(0)
	v_cmp_gt_i32_e32 vcc, 0, v2
	v_readfirstlane_b32 s8, v2
	v_mov_b32_e32 v10, 0
	v_cmp_eq_u32_e64 s[4:5], 0, v5
	s_cbranch_vccnz .LBB4_10
; %bb.9:
	s_trap 2
	ds_read_b64 v[7:8], v0
	v_lshlrev_b64 v[2:3], 3, v[2:3]
	s_movk_i32 s6, 0xa8
	s_waitcnt lgkmcnt(0)
	v_add_co_u32_e32 v2, vcc, v7, v2
	v_addc_co_u32_e32 v3, vcc, v8, v3, vcc
	flat_load_dwordx2 v[2:3], v[2:3]
	v_and_b32_e32 v7, 0xffff, v6
	s_waitcnt vmcnt(0) lgkmcnt(0)
	v_mad_u64_u32 v[2:3], s[6:7], v7, s6, v[2:3]
	s_mov_b32 s6, 1
	flat_load_dwordx2 v[7:8], v[2:3] offset:504
	v_add_co_u32_e32 v25, vcc, 0x1f8, v2
	v_addc_co_u32_e32 v26, vcc, 0, v3, vcc
	s_waitcnt vmcnt(0) lgkmcnt(0)
	buffer_store_dword v7, off, s[0:3], s32 offset:72 ; 4-byte Folded Spill
	s_nop 0
	buffer_store_dword v8, off, s[0:3], s32 offset:76 ; 4-byte Folded Spill
	flat_load_dwordx2 v[36:37], v[2:3] offset:608
	v_cndmask_b32_e64 v3, 0, v26, s[4:5]
	v_cndmask_b32_e64 v2, 0, v25, s[4:5]
	s_branch .LBB4_11
.LBB4_10:
	v_mov_b32_e32 v25, 0
	v_mov_b32_e32 v2, 0
	v_mov_b32_e32 v26, 0
	v_mov_b32_e32 v3, 0
                                        ; implicit-def: $vgpr36_vgpr37
                                        ; implicit-def: $vgpr7_vgpr8
                                        ; kill: killed $vgpr7_vgpr8
.LBB4_11:
	s_trap 2
	ds_read_b32 v13, v0
	s_waitcnt lgkmcnt(0)
	v_cmp_gt_i32_e32 vcc, 0, v13
	s_cbranch_vccnz .LBB4_13
; %bb.12:
	s_trap 2
	ds_read_b64 v[7:8], v0
	v_mov_b32_e32 v14, 0
	v_lshlrev_b64 v[9:10], 3, v[13:14]
	v_and_b32_e32 v6, 0xffff, v6
	s_movk_i32 s4, 0xa8
	s_waitcnt lgkmcnt(0)
	v_add_co_u32_e32 v7, vcc, v7, v9
	v_addc_co_u32_e32 v8, vcc, v8, v10, vcc
	flat_load_dwordx2 v[7:8], v[7:8]
	v_cmp_eq_u32_e32 vcc, 0, v5
	s_waitcnt vmcnt(0) lgkmcnt(0)
	v_mad_u64_u32 v[9:10], s[4:5], v6, s4, v[7:8]
	flat_load_dwordx2 v[38:39], v[9:10]
	flat_load_dwordx2 v[21:22], v[9:10] offset:104
	v_cndmask_b32_e32 v16, 0, v10, vcc
	v_cndmask_b32_e32 v15, 0, v9, vcc
	s_branch .LBB4_14
.LBB4_13:
	v_mov_b32_e32 v15, 0
	v_mov_b32_e32 v16, 0
                                        ; implicit-def: $vgpr21_vgpr22
                                        ; implicit-def: $vgpr38_vgpr39
.LBB4_14:
	v_subrev_u32_e32 v6, 64, v1
	v_cmp_ge_i32_e32 vcc, v4, v6
	v_cmp_gt_u32_e64 s[4:5], s6, v5
	v_mov_b32_e32 v13, 0
	v_mov_b32_e32 v5, 0
	;; [unrolled: 1-line block ×4, first 2 shown]
	s_and_b64 s[24:25], vcc, s[4:5]
	buffer_store_dword v5, off, s[0:3], s32 offset:64 ; 4-byte Folded Spill
	s_nop 0
	buffer_store_dword v6, off, s[0:3], s32 offset:68 ; 4-byte Folded Spill
                                        ; implicit-def: $vgpr48_vgpr49
	s_and_saveexec_b64 s[4:5], s[24:25]
	s_cbranch_execz .LBB4_16
; %bb.15:
	flat_load_dwordx2 v[5:6], v[2:3] offset:56
	s_waitcnt vmcnt(0) lgkmcnt(0)
	buffer_store_dword v5, off, s[0:3], s32 offset:64 ; 4-byte Folded Spill
	s_nop 0
	buffer_store_dword v6, off, s[0:3], s32 offset:68 ; 4-byte Folded Spill
	flat_load_dwordx2 v[48:49], v[2:3] offset:104
.LBB4_16:
	s_or_b64 exec, exec, s[4:5]
	v_mov_b32_e32 v52, 0
	v_mov_b32_e32 v53, 0
	v_cmp_gt_u32_e64 s[4:5], s6, v4
                                        ; implicit-def: $vgpr54_vgpr55
	s_and_saveexec_b64 s[6:7], s[4:5]
	s_cbranch_execz .LBB4_18
; %bb.17:
	flat_load_dwordx2 v[52:53], v[15:16] offset:56
	s_waitcnt vmcnt(0) lgkmcnt(0)
	flat_load_dwordx2 v[54:55], v[52:53] glc
	s_waitcnt vmcnt(0)
	flat_load_dwordx4 v[13:16], v[15:16] offset:96
.LBB4_18:
	s_or_b64 exec, exec, s[6:7]
	buffer_load_dword v32, off, s[0:3], s32 offset:88 ; 4-byte Folded Reload
	buffer_load_dword v33, off, s[0:3], s32 offset:92 ; 4-byte Folded Reload
	;; [unrolled: 1-line block ×4, first 2 shown]
	v_mov_b32_e32 v60, 0
	v_mov_b32_e32 v61, 0
	s_waitcnt vmcnt(0)
	v_cmp_ne_u64_e32 vcc, 0, v[34:35]
	s_and_saveexec_b64 s[26:27], vcc
	s_cbranch_execnz .LBB4_22
; %bb.19:
	s_or_b64 exec, exec, s[26:27]
	s_and_saveexec_b64 s[6:7], s[24:25]
	s_cbranch_execnz .LBB4_195
.LBB4_20:
	s_or_b64 exec, exec, s[6:7]
	s_and_saveexec_b64 s[6:7], s[4:5]
	s_cbranch_execnz .LBB4_196
.LBB4_21:
	s_or_b64 exec, exec, s[6:7]
	v_cmp_ne_u32_e32 vcc, 64, v1
	s_and_saveexec_b64 s[4:5], vcc
	s_cbranch_execnz .LBB4_197
	s_branch .LBB4_214
.LBB4_22:
	v_add_co_u32_e32 v2, vcc, v19, v32
	s_ashr_i32 s6, s8, 31
	v_addc_co_u32_e32 v5, vcc, v20, v33, vcc
	s_lshr_b32 s6, s6, 29
	v_add_co_u32_e32 v42, vcc, v2, v29
	s_ashr_i32 s23, s22, 31
	s_add_i32 s8, s8, s6
	v_addc_co_u32_e32 v43, vcc, v5, v0, vcc
	s_lshl_b64 s[6:7], s[22:23], 2
	v_mov_b32_e32 v0, s7
	v_add_co_u32_e32 v2, vcc, s6, v23
	v_addc_co_u32_e32 v0, vcc, v24, v0, vcc
	v_add_co_u32_e32 v5, vcc, -4, v2
	v_addc_co_u32_e32 v6, vcc, -1, v0, vcc
	buffer_store_dword v25, off, s[0:3], s32 offset:212 ; 4-byte Folded Spill
	s_nop 0
	buffer_store_dword v26, off, s[0:3], s32 offset:216 ; 4-byte Folded Spill
	buffer_store_dword v9, off, s[0:3], s32 offset:204 ; 4-byte Folded Spill
	s_nop 0
	buffer_store_dword v10, off, s[0:3], s32 offset:208 ; 4-byte Folded Spill
	;; [unrolled: 3-line block ×3, first 2 shown]
	v_and_b32_e32 v0, 63, v31
	v_cmp_eq_u32_e64 s[12:13], 0, v0
	v_lshrrev_b32_e32 v0, 6, v1
	v_lshlrev_b32_e32 v5, 1, v4
	s_ashr_i32 s10, s8, 3
	buffer_store_dword v0, off, s[0:3], s32 offset:84 ; 4-byte Folded Spill
	v_mov_b32_e32 v0, v5
	s_and_b32 s23, s10, -16
	v_cmp_ne_u32_e64 s[10:11], 64, v1
	buffer_store_dword v11, off, s[0:3], s32 offset:200 ; 4-byte Folded Spill
	v_cmp_ne_u32_sdwa s[42:43], v1, v11 src0_sel:DWORD src1_sel:WORD_0
	buffer_store_dword v31, off, s[0:3], s32 offset:196 ; 4-byte Folded Spill
	v_lshlrev_b32_e32 v56, 1, v1
	buffer_store_dword v0, off, s[0:3], s32 offset:128 ; 4-byte Folded Spill
	s_nop 0
	buffer_store_dword v1, off, s[0:3], s32 offset:132 ; 4-byte Folded Spill
	buffer_load_dword v9, off, s[0:3], s32 offset:144 ; 4-byte Folded Reload
	buffer_load_dword v10, off, s[0:3], s32 offset:148 ; 4-byte Folded Reload
	;; [unrolled: 1-line block ×4, first 2 shown]
	v_mov_b32_e32 v3, 0
	v_mov_b32_e32 v6, v3
	v_lshlrev_b64 v[7:8], 2, v[5:6]
	s_ashr_i32 s94, s8, 7
	v_cmp_ne_u64_e64 s[6:7], 0, v[52:53]
	s_waitcnt lgkmcnt(0)
	v_cmp_ne_u64_e64 s[8:9], 0, v[13:14]
	s_cmp_gt_i32 s22, 2
	v_mov_b32_e32 v32, 0
	v_mov_b32_e32 v60, 0
	v_and_b32_e32 v50, 0x7ffffc, v17
	s_mov_b32 s29, 0
	v_mov_b32_e32 v51, v3
	s_mov_b64 s[40:41], 0
	v_mov_b32_e32 v57, v3
	s_cselect_b64 s[44:45], -1, 0
	s_mov_b64 s[46:47], 0x7ffffff8
	v_mov_b32_e32 v25, 0
	v_mov_b32_e32 v33, 0
	;; [unrolled: 1-line block ×3, first 2 shown]
	s_waitcnt vmcnt(3)
	v_and_b32_e32 v2, 3, v9
	v_cmp_eq_u64_e64 s[16:17], 0, v[2:3]
	s_waitcnt vmcnt(1)
	v_add_co_u32_e32 v0, vcc, v11, v7
	buffer_store_dword v0, off, s[0:3], s32 offset:168 ; 4-byte Folded Spill
	s_waitcnt vmcnt(1)
	v_addc_co_u32_e32 v0, vcc, v12, v8, vcc
	buffer_store_dword v0, off, s[0:3], s32 offset:172 ; 4-byte Folded Spill
	v_add_co_u32_e32 v0, vcc, v9, v7
	buffer_load_dword v5, off, s[0:3], s32 offset:64 ; 4-byte Folded Reload
	buffer_load_dword v6, off, s[0:3], s32 offset:68 ; 4-byte Folded Reload
	s_nop 0
	buffer_store_dword v0, off, s[0:3], s32 offset:176 ; 4-byte Folded Spill
	buffer_store_dword v7, off, s[0:3], s32 offset:160 ; 4-byte Folded Spill
	s_nop 0
	buffer_store_dword v8, off, s[0:3], s32 offset:164 ; 4-byte Folded Spill
	v_addc_co_u32_e32 v0, vcc, v10, v8, vcc
	buffer_store_dword v0, off, s[0:3], s32 offset:180 ; 4-byte Folded Spill
	buffer_load_dword v8, off, s[0:3], s32 offset:104 ; 4-byte Folded Reload
	buffer_load_dword v9, off, s[0:3], s32 offset:108 ; 4-byte Folded Reload
	s_waitcnt vmcnt(6)
	v_cmp_ne_u64_e64 s[14:15], 0, v[5:6]
	v_mov_b32_e32 v5, v3
	v_lshlrev_b64 v[6:7], 3, v[4:5]
	s_waitcnt vmcnt(0)
	v_lshlrev_b64 v[8:9], 2, v[8:9]
	v_add_co_u32_e32 v0, vcc, v6, v8
	v_addc_co_u32_e32 v2, vcc, v7, v9, vcc
	v_add_co_u32_e32 v11, vcc, v11, v0
	v_lshlrev_b64 v[5:6], 4, v[4:5]
	v_addc_co_u32_e32 v12, vcc, v12, v2, vcc
	v_lshlrev_b32_e32 v0, 2, v17
	v_and_b32_e32 v41, 0x1fffff0, v0
	v_mov_b32_e32 v2, v3
	v_add_co_u32_e32 v0, vcc, v38, v5
	v_lshlrev_b64 v[62:63], 3, v[1:2]
	buffer_store_dword v0, off, s[0:3], s32 offset:188 ; 4-byte Folded Spill
	v_addc_co_u32_e32 v0, vcc, v39, v6, vcc
	v_lshlrev_b64 v[5:6], 4, v[1:2]
	v_mov_b32_e32 v9, v34
	v_mov_b32_e32 v10, v35
	buffer_store_dword v0, off, s[0:3], s32 offset:192 ; 4-byte Folded Spill
	buffer_store_dword v50, off, s[0:3], s32 offset:112 ; 4-byte Folded Spill
	s_nop 0
	buffer_store_dword v51, off, s[0:3], s32 offset:116 ; 4-byte Folded Spill
	buffer_store_dword v41, off, s[0:3], s32 offset:184 ; 4-byte Folded Spill
	s_branch .LBB4_24
.LBB4_23:                               ;   in Loop: Header=BB4_24 Depth=1
	s_or_b64 exec, exec, s[18:19]
	v_add_co_u32_e32 v36, vcc, 1, v36
	v_addc_co_u32_e32 v37, vcc, 0, v37, vcc
	s_waitcnt vmcnt(0)
	v_add_co_u32_e32 v32, vcc, v32, v50
	v_addc_co_u32_e32 v33, vcc, 0, v33, vcc
	v_add_co_u32_e32 v11, vcc, v11, v41
	v_addc_co_u32_e32 v12, vcc, 0, v12, vcc
	v_cmp_ge_u64_e32 vcc, v[32:33], v[9:10]
	s_or_b64 s[40:41], vcc, s[40:41]
	s_andn2_b64 exec, exec, s[40:41]
	s_cbranch_execz .LBB4_194
.LBB4_24:                               ; =>This Loop Header: Depth=1
                                        ;     Child Loop BB4_29 Depth 2
                                        ;     Child Loop BB4_48 Depth 2
	;; [unrolled: 1-line block ×5, first 2 shown]
                                        ;       Child Loop BB4_76 Depth 3
                                        ;       Child Loop BB4_95 Depth 3
	;; [unrolled: 1-line block ×3, first 2 shown]
                                        ;         Child Loop BB4_123 Depth 4
                                        ;       Child Loop BB4_137 Depth 3
                                        ;       Child Loop BB4_112 Depth 3
                                        ;     Child Loop BB4_152 Depth 2
                                        ;       Child Loop BB4_158 Depth 3
                                        ;     Child Loop BB4_181 Depth 2
	buffer_load_dword v7, off, s[0:3], s32 offset:120 ; 4-byte Folded Reload
	buffer_load_dword v8, off, s[0:3], s32 offset:124 ; 4-byte Folded Reload
	s_waitcnt vmcnt(0)
	flat_load_dword v7, v[7:8]
	v_sub_co_u32_e32 v8, vcc, v9, v32
	v_subb_co_u32_e32 v9, vcc, v10, v33, vcc
	v_cmp_lt_u64_e32 vcc, v[50:51], v[8:9]
	v_cndmask_b32_e32 v8, v8, v50, vcc
	v_lshl_add_u32 v0, v8, 3, 8
	v_and_b32_e32 v0, 0x7fffff0, v0
	buffer_store_dword v0, off, s[0:3], s32 offset:80 ; 4-byte Folded Spill
	s_and_saveexec_b64 s[20:21], s[6:7]
	s_cbranch_execz .LBB4_40
; %bb.25:                               ;   in Loop: Header=BB4_24 Depth=1
	v_add_co_u32_e32 v9, vcc, 1, v15
	v_addc_co_u32_e32 v10, vcc, 0, v16, vcc
	s_waitcnt lgkmcnt(0)
	v_add_co_u32_e32 v16, vcc, 8, v54
	v_addc_co_u32_e32 v17, vcc, 0, v55, vcc
	v_cmp_lt_u64_e32 vcc, v[16:17], v[9:10]
	s_and_saveexec_b64 s[56:57], vcc
	s_cbranch_execz .LBB4_37
; %bb.26:                               ;   in Loop: Header=BB4_24 Depth=1
	s_mov_b32 s28, 0
	v_cmp_eq_u32_e32 vcc, 0, v25
	s_mov_b64 s[58:59], 0
                                        ; implicit-def: $sgpr60_sgpr61
                                        ; implicit-def: $sgpr62_sgpr63
                                        ; implicit-def: $sgpr72_sgpr73
	s_branch .LBB4_29
.LBB4_27:                               ;   in Loop: Header=BB4_29 Depth=2
	s_or_b64 exec, exec, s[90:91]
	s_andn2_b64 s[18:19], s[72:73], exec
	s_and_b64 s[72:73], s[78:79], exec
	s_or_b64 s[72:73], s[18:19], s[72:73]
	s_andn2_b64 s[18:19], s[62:63], exec
	s_and_b64 s[62:63], s[76:77], exec
	s_or_b64 s[62:63], s[18:19], s[62:63]
.LBB4_28:                               ;   in Loop: Header=BB4_29 Depth=2
	s_or_b64 exec, exec, s[74:75]
	s_and_b64 s[18:19], exec, s[62:63]
	s_or_b64 s[58:59], s[18:19], s[58:59]
	s_andn2_b64 s[18:19], s[60:61], exec
	s_and_b64 s[60:61], s[72:73], exec
	s_or_b64 s[60:61], s[18:19], s[60:61]
	s_andn2_b64 exec, exec, s[58:59]
	s_cbranch_execz .LBB4_34
.LBB4_29:                               ;   Parent Loop BB4_24 Depth=1
                                        ; =>  This Inner Loop Header: Depth=2
	s_sleep 1
	s_waitcnt vmcnt(0) lgkmcnt(0)
	flat_load_dwordx2 v[54:55], v[52:53] glc
	v_mov_b32_e32 v25, 1
	s_or_b64 s[72:73], s[72:73], exec
	s_or_b64 s[62:63], s[62:63], exec
                                        ; implicit-def: $vgpr0
	s_and_saveexec_b64 s[74:75], vcc
	s_cbranch_execz .LBB4_28
; %bb.30:                               ;   in Loop: Header=BB4_29 Depth=2
	s_add_i32 s28, s28, 1
	s_cmpk_lg_i32 s28, 0x2710
	s_cselect_b64 s[88:89], -1, 0
	s_cmpk_eq_i32 s28, 0x2710
	s_mov_b64 s[76:77], -1
	s_mov_b64 s[78:79], -1
                                        ; implicit-def: $vgpr0
	s_cbranch_scc1 .LBB4_32
; %bb.31:                               ;   in Loop: Header=BB4_29 Depth=2
	v_mov_b32_e32 v25, 1
	s_and_saveexec_b64 s[90:91], s[88:89]
	s_cbranch_execz .LBB4_27
	s_branch .LBB4_33
.LBB4_32:                               ;   in Loop: Header=BB4_29 Depth=2
	s_trap 2
	ds_read_b64 v[16:17], v0
	s_andn2_b64 s[88:89], s[88:89], exec
	s_mov_b32 s28, 0
	s_mov_b64 s[78:79], 0
	s_waitcnt vmcnt(0) lgkmcnt(0)
	flat_load_dword v0, v[16:17] glc
	s_waitcnt vmcnt(0) lgkmcnt(0)
	buffer_wbinvl1_vol
	v_cmp_eq_u32_e64 s[18:19], 0, v0
	s_and_b64 s[18:19], s[18:19], exec
	s_or_b64 s[88:89], s[88:89], s[18:19]
	v_mov_b32_e32 v25, 1
	s_and_saveexec_b64 s[90:91], s[88:89]
	s_cbranch_execz .LBB4_27
.LBB4_33:                               ;   in Loop: Header=BB4_29 Depth=2
	s_waitcnt vmcnt(0) lgkmcnt(0)
	v_add_co_u32_e64 v16, s[18:19], 8, v54
	v_addc_co_u32_e64 v17, s[18:19], 0, v55, s[18:19]
	v_cmp_ge_u64_e64 s[18:19], v[16:17], v[9:10]
	v_mov_b32_e32 v25, 0
	s_or_b64 s[78:79], s[78:79], exec
	s_orn2_b64 s[76:77], s[18:19], exec
	s_branch .LBB4_27
.LBB4_34:                               ;   in Loop: Header=BB4_24 Depth=1
	s_or_b64 exec, exec, s[58:59]
	s_xor_b64 s[18:19], s[60:61], -1
	s_and_saveexec_b64 s[58:59], s[18:19]
	s_xor_b64 s[18:19], exec, s[58:59]
	s_cbranch_execz .LBB4_36
; %bb.35:                               ;   in Loop: Header=BB4_24 Depth=1
	v_mov_b32_e32 v25, 1
	s_waitcnt lgkmcnt(0)
	ds_write_b32 v0, v0
	s_trap 2
.LBB4_36:                               ;   in Loop: Header=BB4_24 Depth=1
	s_or_b64 exec, exec, s[18:19]
.LBB4_37:                               ;   in Loop: Header=BB4_24 Depth=1
	s_or_b64 exec, exec, s[56:57]
	s_and_saveexec_b64 s[18:19], s[8:9]
	s_cbranch_execz .LBB4_39
; %bb.38:                               ;   in Loop: Header=BB4_24 Depth=1
	v_and_b32_e32 v2, 0x7ffffff8, v15
	v_cmp_eq_u64_e32 vcc, s[46:47], v[2:3]
	buffer_load_dword v2, off, s[0:3], s32 offset:80 ; 4-byte Folded Reload
	v_and_b32_e32 v0, 7, v15
	v_mad_u64_u32 v[15:16], s[56:57], v0, 24, v[13:14]
	v_mov_b32_e32 v0, s23
	s_waitcnt vmcnt(0)
	v_cndmask_b32_e32 v17, v2, v0, vcc
	v_ashrrev_i32_e32 v18, 31, v17
	flat_store_dwordx2 v[15:16], v[17:18] offset:8
	s_waitcnt vmcnt(0)
.LBB4_39:                               ;   in Loop: Header=BB4_24 Depth=1
	s_or_b64 exec, exec, s[18:19]
	v_mov_b32_e32 v16, v10
	v_mov_b32_e32 v15, v9
.LBB4_40:                               ;   in Loop: Header=BB4_24 Depth=1
	s_or_b64 exec, exec, s[20:21]
	s_and_saveexec_b64 s[18:19], s[10:11]
	s_cbranch_execz .LBB4_59
; %bb.41:                               ;   in Loop: Header=BB4_24 Depth=1
	s_and_saveexec_b64 s[20:21], s[42:43]
	s_xor_b64 s[20:21], exec, s[20:21]
	s_cbranch_execz .LBB4_56
; %bb.42:                               ;   in Loop: Header=BB4_24 Depth=1
	s_and_saveexec_b64 s[56:57], s[12:13]
	s_cbranch_execz .LBB4_55
; %bb.43:                               ;   in Loop: Header=BB4_24 Depth=1
	s_mov_b64 s[60:61], exec
	v_mbcnt_lo_u32_b32 v0, s60, 0
	v_mbcnt_hi_u32_b32 v0, s61, v0
	v_cmp_eq_u32_e32 vcc, 0, v0
	s_waitcnt vmcnt(0) lgkmcnt(0)
	buffer_wbinvl1_vol
	s_and_saveexec_b64 s[58:59], vcc
	s_cbranch_execz .LBB4_45
; %bb.44:                               ;   in Loop: Header=BB4_24 Depth=1
	s_bcnt1_i32_b64 s28, s[60:61]
	v_mov_b32_e32 v2, s28
	ds_add_u64 v0, v[2:3]
	s_trap 2
.LBB4_45:                               ;   in Loop: Header=BB4_24 Depth=1
	s_or_b64 exec, exec, s[58:59]
	s_trap 2
	ds_read_b64 v[9:10], v0
	s_waitcnt lgkmcnt(0)
	buffer_load_dword v0, off, s[0:3], s32 offset:84 ; 4-byte Folded Reload
	s_waitcnt vmcnt(0)
	v_add_co_u32_e32 v60, vcc, v60, v0
	v_addc_co_u32_e32 v61, vcc, 0, v61, vcc
	v_cmp_lt_u64_e32 vcc, v[9:10], v[60:61]
	s_and_saveexec_b64 s[58:59], vcc
	s_cbranch_execz .LBB4_54
; %bb.46:                               ;   in Loop: Header=BB4_24 Depth=1
	s_mov_b32 s28, 0
	s_mov_b64 s[60:61], 0
                                        ; implicit-def: $sgpr62_sgpr63
                                        ; implicit-def: $sgpr72_sgpr73
	s_branch .LBB4_48
.LBB4_47:                               ;   in Loop: Header=BB4_48 Depth=2
	s_or_b64 exec, exec, s[76:77]
	s_and_b64 s[74:75], exec, s[78:79]
	s_or_b64 s[60:61], s[74:75], s[60:61]
	s_andn2_b64 s[62:63], s[62:63], exec
	s_and_b64 s[74:75], s[72:73], exec
	s_or_b64 s[62:63], s[62:63], s[74:75]
	s_andn2_b64 exec, exec, s[60:61]
	s_cbranch_execz .LBB4_52
.LBB4_48:                               ;   Parent Loop BB4_24 Depth=1
                                        ; =>  This Inner Loop Header: Depth=2
	s_add_i32 s28, s28, 1
	s_cmpk_lg_i32 s28, 0x2710
	s_cselect_b64 s[74:75], -1, 0
	s_and_b64 vcc, exec, s[74:75]
	s_cbranch_vccz .LBB4_50
; %bb.49:                               ;   in Loop: Header=BB4_48 Depth=2
	s_mov_b64 s[78:79], -1
	s_or_b64 s[72:73], s[72:73], exec
	s_and_saveexec_b64 s[76:77], s[74:75]
	s_cbranch_execz .LBB4_47
	s_branch .LBB4_51
.LBB4_50:                               ;   in Loop: Header=BB4_48 Depth=2
	s_trap 2
	ds_read_b64 v[9:10], v0
	s_andn2_b64 s[74:75], s[74:75], exec
	s_mov_b32 s28, 0
	s_waitcnt lgkmcnt(0)
	flat_load_dword v0, v[9:10] glc
	s_waitcnt vmcnt(0) lgkmcnt(0)
	buffer_wbinvl1_vol
	v_cmp_eq_u32_e32 vcc, 0, v0
	s_and_b64 s[76:77], vcc, exec
	s_or_b64 s[74:75], s[74:75], s[76:77]
	s_mov_b64 s[78:79], -1
	s_or_b64 s[72:73], s[72:73], exec
	s_and_saveexec_b64 s[76:77], s[74:75]
	s_cbranch_execz .LBB4_47
.LBB4_51:                               ;   in Loop: Header=BB4_48 Depth=2
	s_sleep 1
	s_trap 2
	ds_read_b64 v[9:10], v0
	s_waitcnt lgkmcnt(0)
	s_andn2_b64 s[72:73], s[72:73], exec
	v_cmp_ge_u64_e32 vcc, v[9:10], v[60:61]
	s_orn2_b64 s[78:79], vcc, exec
	s_branch .LBB4_47
.LBB4_52:                               ;   in Loop: Header=BB4_24 Depth=1
	s_or_b64 exec, exec, s[60:61]
	s_and_saveexec_b64 s[60:61], s[62:63]
	s_xor_b64 s[60:61], exec, s[60:61]
	s_cbranch_execz .LBB4_54
; %bb.53:                               ;   in Loop: Header=BB4_24 Depth=1
	v_mov_b32_e32 v0, 1
	ds_write_b32 v0, v0
	s_trap 2
.LBB4_54:                               ;   in Loop: Header=BB4_24 Depth=1
	s_or_b64 exec, exec, s[58:59]
	;;#ASMSTART
	s_wakeup
	;;#ASMEND
.LBB4_55:                               ;   in Loop: Header=BB4_24 Depth=1
	s_or_b64 exec, exec, s[56:57]
.LBB4_56:                               ;   in Loop: Header=BB4_24 Depth=1
	s_andn2_saveexec_b64 s[20:21], s[20:21]
	s_cbranch_execz .LBB4_58
; %bb.57:                               ;   in Loop: Header=BB4_24 Depth=1
	s_waitcnt vmcnt(0) lgkmcnt(0)
	buffer_wbinvl1_vol
	s_barrier
.LBB4_58:                               ;   in Loop: Header=BB4_24 Depth=1
	s_or_b64 exec, exec, s[20:21]
.LBB4_59:                               ;   in Loop: Header=BB4_24 Depth=1
	s_or_b64 exec, exec, s[18:19]
	buffer_load_dword v9, off, s[0:3], s32 offset:128 ; 4-byte Folded Reload
	buffer_load_dword v10, off, s[0:3], s32 offset:132 ; 4-byte Folded Reload
	v_and_b32_e32 v0, 7, v21
	v_add_u32_e32 v18, 1, v21
	s_waitcnt vmcnt(0)
	v_sub_u32_e32 v34, v8, v9
	v_cmp_lt_i32_e64 s[18:19], 0, v34
	v_mov_b32_e32 v9, v4
	s_and_saveexec_b64 s[20:21], s[18:19]
	s_cbranch_execz .LBB4_65
; %bb.60:                               ;   in Loop: Header=BB4_24 Depth=1
	v_lshlrev_b64 v[9:10], 2, v[42:43]
	s_waitcnt lgkmcnt(0)
	v_ashrrev_i32_e32 v2, 31, v7
	v_mul_lo_u32 v10, v10, v7
	v_mul_lo_u32 v2, v9, v2
	v_mad_u64_u32 v[28:29], s[56:57], v9, v7, 0
	v_mul_lo_u32 v8, v0, s94
	s_mov_b64 s[56:57], 0
	v_add3_u32 v29, v29, v2, v10
	buffer_load_dword v2, off, s[0:3], s32 offset:188 ; 4-byte Folded Reload
	v_ashrrev_i32_e32 v9, 31, v8
	v_lshlrev_b64 v[7:8], 4, v[8:9]
	v_mov_b32_e32 v9, v4
                                        ; implicit-def: $vgpr44_vgpr45
	s_waitcnt vmcnt(0)
	v_add_co_u32_e32 v30, vcc, v2, v7
	buffer_load_dword v2, off, s[0:3], s32 offset:192 ; 4-byte Folded Reload
	s_waitcnt vmcnt(0)
	v_addc_co_u32_e32 v31, vcc, v2, v8, vcc
	v_mov_b32_e32 v2, v34
	s_branch .LBB4_62
.LBB4_61:                               ;   in Loop: Header=BB4_62 Depth=2
	s_or_b64 exec, exec, s[58:59]
	s_waitcnt vmcnt(0)
	v_mul_lo_u32 v17, v7, v27
	v_mul_lo_u32 v19, v45, v27
	v_add_co_u32_e32 v28, vcc, v28, v62
	v_sub_u32_e32 v2, v2, v56
	v_addc_co_u32_e32 v29, vcc, v29, v63, vcc
	v_mov_b32_e32 v20, v18
	v_cmp_gt_i32_e32 vcc, 1, v2
	global_store_dwordx4 v[30:31], v[17:20], off
	s_or_b64 s[56:57], vcc, s[56:57]
	v_add_co_u32_e32 v30, vcc, v30, v5
	v_add_u32_e32 v9, v9, v1
	v_addc_co_u32_e32 v31, vcc, v31, v6, vcc
	s_andn2_b64 exec, exec, s[56:57]
	s_cbranch_execz .LBB4_64
.LBB4_62:                               ;   Parent Loop BB4_24 Depth=1
                                        ; =>  This Inner Loop Header: Depth=2
	v_add_co_u32_e32 v19, vcc, v11, v28
	v_addc_co_u32_e32 v20, vcc, v12, v29, vcc
	global_load_dword v7, v[19:20], off glc slc
	v_cmp_ne_u32_e32 vcc, 1, v2
	s_and_saveexec_b64 s[58:59], vcc
	s_cbranch_execz .LBB4_61
; %bb.63:                               ;   in Loop: Header=BB4_62 Depth=2
	global_load_dword v45, v[19:20], off offset:4 glc slc
	s_branch .LBB4_61
.LBB4_64:                               ;   in Loop: Header=BB4_24 Depth=1
	s_or_b64 exec, exec, s[56:57]
.LBB4_65:                               ;   in Loop: Header=BB4_24 Depth=1
	s_or_b64 exec, exec, s[20:21]
	v_and_b32_e32 v2, 0x7ffffff8, v21
	v_cmp_eq_u64_e32 vcc, s[46:47], v[2:3]
	v_cmp_gt_i32_e64 s[20:21], s94, v9
	s_and_b64 s[20:21], vcc, s[20:21]
	s_and_saveexec_b64 s[56:57], s[20:21]
	s_cbranch_execz .LBB4_68
; %bb.66:                               ;   in Loop: Header=BB4_24 Depth=1
	s_waitcnt lgkmcnt(0)
	v_mul_lo_u32 v7, v0, s94
	v_ashrrev_i32_e32 v10, 31, v9
	v_lshlrev_b64 v[19:20], 4, v[9:10]
	v_mov_b32_e32 v17, v3
	v_ashrrev_i32_e32 v8, 31, v7
	v_lshlrev_b64 v[7:8], 4, v[7:8]
	s_mov_b64 s[58:59], 0
	v_add_co_u32_e32 v0, vcc, v19, v7
	v_addc_co_u32_e32 v2, vcc, v20, v8, vcc
	v_add_co_u32_e32 v28, vcc, v38, v0
	v_addc_co_u32_e32 v29, vcc, v39, v2, vcc
.LBB4_67:                               ;   Parent Loop BB4_24 Depth=1
                                        ; =>  This Inner Loop Header: Depth=2
	v_mov_b32_e32 v19, v17
	v_mov_b32_e32 v20, v18
	v_add_u32_e32 v9, v9, v1
	global_store_dwordx4 v[28:29], v[17:20], off
	v_add_co_u32_e32 v28, vcc, v28, v5
	v_cmp_le_i32_e64 s[20:21], s94, v9
	s_or_b64 s[58:59], s[20:21], s[58:59]
	v_addc_co_u32_e32 v29, vcc, v29, v6, vcc
	s_andn2_b64 exec, exec, s[58:59]
	s_cbranch_execnz .LBB4_67
.LBB4_68:                               ;   in Loop: Header=BB4_24 Depth=1
	s_or_b64 exec, exec, s[56:57]
	s_waitcnt lgkmcnt(0)
	buffer_load_dword v7, off, s[0:3], s32 offset:104 ; 4-byte Folded Reload
	buffer_load_dword v8, off, s[0:3], s32 offset:108 ; 4-byte Folded Reload
	v_add_co_u32_e64 v28, s[20:21], 1, v21
	v_addc_co_u32_e64 v29, s[20:21], 0, v22, s[20:21]
	s_waitcnt vmcnt(1)
	v_add_co_u32_e32 v7, vcc, v32, v7
	s_waitcnt vmcnt(0)
	v_addc_co_u32_e32 v8, vcc, v33, v8, vcc
	v_lshlrev_b64 v[7:8], 2, v[7:8]
	s_andn2_b64 vcc, exec, s[44:45]
	s_cbranch_vccnz .LBB4_148
; %bb.69:                               ;   in Loop: Header=BB4_24 Depth=1
	buffer_load_dword v0, off, s[0:3], s32 offset:168 ; 4-byte Folded Reload
	s_mov_b32 s95, 2
	s_waitcnt vmcnt(0)
	v_add_co_u32_e32 v41, vcc, v0, v7
	buffer_load_dword v0, off, s[0:3], s32 offset:172 ; 4-byte Folded Reload
	s_nop 0
	buffer_store_dword v7, off, s[0:3], s32 offset:136 ; 4-byte Folded Spill
	s_nop 0
	buffer_store_dword v8, off, s[0:3], s32 offset:140 ; 4-byte Folded Spill
	s_waitcnt vmcnt(2)
	v_addc_co_u32_e32 v7, vcc, v0, v8, vcc
	v_add_u16_e32 v8, 1, v21
	s_branch .LBB4_71
.LBB4_70:                               ;   in Loop: Header=BB4_71 Depth=2
	s_or_b64 exec, exec, s[56:57]
	v_add_co_u32_e32 v36, vcc, 1, v36
	v_addc_co_u32_e32 v37, vcc, 0, v37, vcc
	s_add_i32 s95, s95, 1
	v_add_co_u32_e32 v28, vcc, 1, v28
	v_addc_co_u32_e32 v29, vcc, 0, v29, vcc
	s_cmp_eq_u32 s95, s22
	v_add_u16_e32 v8, 1, v8
	s_cbranch_scc1 .LBB4_149
.LBB4_71:                               ;   Parent Loop BB4_24 Depth=1
                                        ; =>  This Loop Header: Depth=2
                                        ;       Child Loop BB4_76 Depth 3
                                        ;       Child Loop BB4_95 Depth 3
	;; [unrolled: 1-line block ×3, first 2 shown]
                                        ;         Child Loop BB4_123 Depth 4
                                        ;       Child Loop BB4_137 Depth 3
                                        ;       Child Loop BB4_112 Depth 3
	s_sub_i32 s28, s22, s95
	s_lshl_b64 s[20:21], s[28:29], 2
	v_mov_b32_e32 v0, s21
	v_add_co_u32_e32 v9, vcc, s20, v23
	v_addc_co_u32_e32 v10, vcc, v24, v0, vcc
	s_waitcnt vmcnt(0) lgkmcnt(0)
	flat_load_dword v17, v[9:10]
	s_and_saveexec_b64 s[56:57], s[6:7]
	s_cbranch_execz .LBB4_87
; %bb.72:                               ;   in Loop: Header=BB4_71 Depth=2
	v_add_co_u32_e32 v9, vcc, 1, v15
	v_addc_co_u32_e32 v10, vcc, 0, v16, vcc
	v_add_co_u32_e32 v18, vcc, 8, v54
	v_addc_co_u32_e32 v19, vcc, 0, v55, vcc
	v_cmp_lt_u64_e32 vcc, v[18:19], v[9:10]
	s_and_saveexec_b64 s[58:59], vcc
	s_cbranch_execz .LBB4_84
; %bb.73:                               ;   in Loop: Header=BB4_71 Depth=2
	s_mov_b32 s28, 0
	v_cmp_eq_u32_e32 vcc, 0, v25
	s_mov_b64 s[60:61], 0
                                        ; implicit-def: $sgpr62_sgpr63
                                        ; implicit-def: $sgpr72_sgpr73
                                        ; implicit-def: $sgpr74_sgpr75
	s_branch .LBB4_76
.LBB4_74:                               ;   in Loop: Header=BB4_76 Depth=3
	s_or_b64 exec, exec, s[92:93]
	s_andn2_b64 s[20:21], s[74:75], exec
	s_and_b64 s[74:75], s[88:89], exec
	s_or_b64 s[74:75], s[20:21], s[74:75]
	s_andn2_b64 s[20:21], s[72:73], exec
	s_and_b64 s[72:73], s[78:79], exec
	s_or_b64 s[72:73], s[20:21], s[72:73]
.LBB4_75:                               ;   in Loop: Header=BB4_76 Depth=3
	s_or_b64 exec, exec, s[76:77]
	s_and_b64 s[20:21], exec, s[72:73]
	s_or_b64 s[60:61], s[20:21], s[60:61]
	s_andn2_b64 s[20:21], s[62:63], exec
	s_and_b64 s[62:63], s[74:75], exec
	s_or_b64 s[62:63], s[20:21], s[62:63]
	s_andn2_b64 exec, exec, s[60:61]
	s_cbranch_execz .LBB4_81
.LBB4_76:                               ;   Parent Loop BB4_24 Depth=1
                                        ;     Parent Loop BB4_71 Depth=2
                                        ; =>    This Inner Loop Header: Depth=3
	s_sleep 1
	s_waitcnt vmcnt(0) lgkmcnt(0)
	flat_load_dwordx2 v[54:55], v[52:53] glc
	v_mov_b32_e32 v25, 1
	s_or_b64 s[74:75], s[74:75], exec
	s_or_b64 s[72:73], s[72:73], exec
                                        ; implicit-def: $vgpr0
	s_and_saveexec_b64 s[76:77], vcc
	s_cbranch_execz .LBB4_75
; %bb.77:                               ;   in Loop: Header=BB4_76 Depth=3
	s_add_i32 s28, s28, 1
	s_cmpk_lg_i32 s28, 0x2710
	s_cselect_b64 s[90:91], -1, 0
	s_cmpk_eq_i32 s28, 0x2710
	s_mov_b64 s[78:79], -1
	s_mov_b64 s[88:89], -1
                                        ; implicit-def: $vgpr0
	s_cbranch_scc1 .LBB4_79
; %bb.78:                               ;   in Loop: Header=BB4_76 Depth=3
	v_mov_b32_e32 v25, 1
	s_and_saveexec_b64 s[92:93], s[90:91]
	s_cbranch_execz .LBB4_74
	s_branch .LBB4_80
.LBB4_79:                               ;   in Loop: Header=BB4_76 Depth=3
	s_trap 2
	ds_read_b64 v[18:19], v0
	s_andn2_b64 s[90:91], s[90:91], exec
	s_mov_b32 s28, 0
	s_mov_b64 s[88:89], 0
	s_waitcnt vmcnt(0) lgkmcnt(0)
	flat_load_dword v0, v[18:19] glc
	s_waitcnt vmcnt(0) lgkmcnt(0)
	buffer_wbinvl1_vol
	v_cmp_eq_u32_e64 s[20:21], 0, v0
	s_and_b64 s[20:21], s[20:21], exec
	s_or_b64 s[90:91], s[90:91], s[20:21]
	v_mov_b32_e32 v25, 1
	s_and_saveexec_b64 s[92:93], s[90:91]
	s_cbranch_execz .LBB4_74
.LBB4_80:                               ;   in Loop: Header=BB4_76 Depth=3
	s_waitcnt vmcnt(0) lgkmcnt(0)
	v_add_co_u32_e64 v18, s[20:21], 8, v54
	v_addc_co_u32_e64 v19, s[20:21], 0, v55, s[20:21]
	v_cmp_ge_u64_e64 s[20:21], v[18:19], v[9:10]
	v_mov_b32_e32 v25, 0
	s_or_b64 s[88:89], s[88:89], exec
	s_orn2_b64 s[78:79], s[20:21], exec
	s_branch .LBB4_74
.LBB4_81:                               ;   in Loop: Header=BB4_71 Depth=2
	s_or_b64 exec, exec, s[60:61]
	s_xor_b64 s[20:21], s[62:63], -1
	s_and_saveexec_b64 s[60:61], s[20:21]
	s_xor_b64 s[20:21], exec, s[60:61]
	s_cbranch_execz .LBB4_83
; %bb.82:                               ;   in Loop: Header=BB4_71 Depth=2
	v_mov_b32_e32 v25, 1
	s_waitcnt lgkmcnt(0)
	ds_write_b32 v0, v0
	s_trap 2
.LBB4_83:                               ;   in Loop: Header=BB4_71 Depth=2
	s_or_b64 exec, exec, s[20:21]
.LBB4_84:                               ;   in Loop: Header=BB4_71 Depth=2
	s_or_b64 exec, exec, s[58:59]
	s_and_saveexec_b64 s[20:21], s[8:9]
	s_cbranch_execz .LBB4_86
; %bb.85:                               ;   in Loop: Header=BB4_71 Depth=2
	v_and_b32_e32 v2, 0x7ffffff8, v15
	v_cmp_eq_u64_e32 vcc, s[46:47], v[2:3]
	buffer_load_dword v2, off, s[0:3], s32 offset:80 ; 4-byte Folded Reload
	v_and_b32_e32 v0, 7, v15
	v_mad_u64_u32 v[15:16], s[58:59], v0, 24, v[13:14]
	v_mov_b32_e32 v0, s23
	s_waitcnt vmcnt(0)
	v_cndmask_b32_e32 v18, v2, v0, vcc
	v_ashrrev_i32_e32 v19, 31, v18
	flat_store_dwordx2 v[15:16], v[18:19] offset:8
	s_waitcnt vmcnt(0)
.LBB4_86:                               ;   in Loop: Header=BB4_71 Depth=2
	s_or_b64 exec, exec, s[20:21]
	v_mov_b32_e32 v16, v10
	v_mov_b32_e32 v15, v9
.LBB4_87:                               ;   in Loop: Header=BB4_71 Depth=2
	s_or_b64 exec, exec, s[56:57]
	s_and_saveexec_b64 s[20:21], s[10:11]
	s_cbranch_execz .LBB4_106
; %bb.88:                               ;   in Loop: Header=BB4_71 Depth=2
	s_and_saveexec_b64 s[56:57], s[42:43]
	s_xor_b64 s[56:57], exec, s[56:57]
	s_cbranch_execz .LBB4_103
; %bb.89:                               ;   in Loop: Header=BB4_71 Depth=2
	s_and_saveexec_b64 s[58:59], s[12:13]
	s_cbranch_execz .LBB4_102
; %bb.90:                               ;   in Loop: Header=BB4_71 Depth=2
	s_mov_b64 s[62:63], exec
	v_mbcnt_lo_u32_b32 v0, s62, 0
	v_mbcnt_hi_u32_b32 v0, s63, v0
	v_cmp_eq_u32_e32 vcc, 0, v0
	s_waitcnt vmcnt(0) lgkmcnt(0)
	buffer_wbinvl1_vol
	s_and_saveexec_b64 s[60:61], vcc
	s_cbranch_execz .LBB4_92
; %bb.91:                               ;   in Loop: Header=BB4_71 Depth=2
	s_bcnt1_i32_b64 s28, s[62:63]
	v_mov_b32_e32 v2, s28
	ds_add_u64 v0, v[2:3]
	s_trap 2
.LBB4_92:                               ;   in Loop: Header=BB4_71 Depth=2
	s_or_b64 exec, exec, s[60:61]
	s_trap 2
	ds_read_b64 v[9:10], v0
	s_waitcnt lgkmcnt(0)
	buffer_load_dword v0, off, s[0:3], s32 offset:84 ; 4-byte Folded Reload
	s_waitcnt vmcnt(0)
	v_add_co_u32_e32 v60, vcc, v60, v0
	v_addc_co_u32_e32 v61, vcc, 0, v61, vcc
	v_cmp_lt_u64_e32 vcc, v[9:10], v[60:61]
	s_and_saveexec_b64 s[60:61], vcc
	s_cbranch_execz .LBB4_101
; %bb.93:                               ;   in Loop: Header=BB4_71 Depth=2
	s_mov_b32 s28, 0
	s_mov_b64 s[62:63], 0
                                        ; implicit-def: $sgpr72_sgpr73
                                        ; implicit-def: $sgpr74_sgpr75
	s_branch .LBB4_95
.LBB4_94:                               ;   in Loop: Header=BB4_95 Depth=3
	s_or_b64 exec, exec, s[78:79]
	s_and_b64 s[76:77], exec, s[88:89]
	s_or_b64 s[62:63], s[76:77], s[62:63]
	s_andn2_b64 s[72:73], s[72:73], exec
	s_and_b64 s[76:77], s[74:75], exec
	s_or_b64 s[72:73], s[72:73], s[76:77]
	s_andn2_b64 exec, exec, s[62:63]
	s_cbranch_execz .LBB4_99
.LBB4_95:                               ;   Parent Loop BB4_24 Depth=1
                                        ;     Parent Loop BB4_71 Depth=2
                                        ; =>    This Inner Loop Header: Depth=3
	s_add_i32 s28, s28, 1
	s_cmpk_lg_i32 s28, 0x2710
	s_cselect_b64 s[76:77], -1, 0
	s_and_b64 vcc, exec, s[76:77]
	s_cbranch_vccz .LBB4_97
; %bb.96:                               ;   in Loop: Header=BB4_95 Depth=3
	s_mov_b64 s[88:89], -1
	s_or_b64 s[74:75], s[74:75], exec
	s_and_saveexec_b64 s[78:79], s[76:77]
	s_cbranch_execz .LBB4_94
	s_branch .LBB4_98
.LBB4_97:                               ;   in Loop: Header=BB4_95 Depth=3
	s_trap 2
	ds_read_b64 v[9:10], v0
	s_andn2_b64 s[76:77], s[76:77], exec
	s_mov_b32 s28, 0
	s_waitcnt lgkmcnt(0)
	flat_load_dword v0, v[9:10] glc
	s_waitcnt vmcnt(0) lgkmcnt(0)
	buffer_wbinvl1_vol
	v_cmp_eq_u32_e32 vcc, 0, v0
	s_and_b64 s[78:79], vcc, exec
	s_or_b64 s[76:77], s[76:77], s[78:79]
	s_mov_b64 s[88:89], -1
	s_or_b64 s[74:75], s[74:75], exec
	s_and_saveexec_b64 s[78:79], s[76:77]
	s_cbranch_execz .LBB4_94
.LBB4_98:                               ;   in Loop: Header=BB4_95 Depth=3
	s_sleep 1
	s_trap 2
	ds_read_b64 v[9:10], v0
	s_waitcnt lgkmcnt(0)
	s_andn2_b64 s[74:75], s[74:75], exec
	v_cmp_ge_u64_e32 vcc, v[9:10], v[60:61]
	s_orn2_b64 s[88:89], vcc, exec
	s_branch .LBB4_94
.LBB4_99:                               ;   in Loop: Header=BB4_71 Depth=2
	s_or_b64 exec, exec, s[62:63]
	s_and_saveexec_b64 s[62:63], s[72:73]
	s_xor_b64 s[62:63], exec, s[62:63]
	s_cbranch_execz .LBB4_101
; %bb.100:                              ;   in Loop: Header=BB4_71 Depth=2
	v_mov_b32_e32 v0, 1
	ds_write_b32 v0, v0
	s_trap 2
.LBB4_101:                              ;   in Loop: Header=BB4_71 Depth=2
	s_or_b64 exec, exec, s[60:61]
	;;#ASMSTART
	s_wakeup
	;;#ASMEND
.LBB4_102:                              ;   in Loop: Header=BB4_71 Depth=2
	s_or_b64 exec, exec, s[58:59]
.LBB4_103:                              ;   in Loop: Header=BB4_71 Depth=2
	s_andn2_saveexec_b64 s[56:57], s[56:57]
	s_cbranch_execz .LBB4_105
; %bb.104:                              ;   in Loop: Header=BB4_71 Depth=2
	s_waitcnt vmcnt(0) lgkmcnt(0)
	buffer_wbinvl1_vol
	s_barrier
.LBB4_105:                              ;   in Loop: Header=BB4_71 Depth=2
	s_or_b64 exec, exec, s[56:57]
.LBB4_106:                              ;   in Loop: Header=BB4_71 Depth=2
	s_or_b64 exec, exec, s[20:21]
	v_add_u32_e32 v18, 1, v28
	v_mov_b32_e32 v2, v4
	s_and_saveexec_b64 s[56:57], s[18:19]
	s_cbranch_execnz .LBB4_113
; %bb.107:                              ;   in Loop: Header=BB4_71 Depth=2
	s_or_b64 exec, exec, s[56:57]
	s_and_saveexec_b64 s[20:21], s[10:11]
	s_cbranch_execnz .LBB4_130
.LBB4_108:                              ;   in Loop: Header=BB4_71 Depth=2
	s_or_b64 exec, exec, s[20:21]
	s_and_saveexec_b64 s[20:21], s[14:15]
	s_cbranch_execz .LBB4_110
.LBB4_109:                              ;   in Loop: Header=BB4_71 Depth=2
	buffer_load_dword v9, off, s[0:3], s32 offset:64 ; 4-byte Folded Reload
	buffer_load_dword v10, off, s[0:3], s32 offset:68 ; 4-byte Folded Reload
	v_add_co_u32_e32 v48, vcc, 1, v48
	v_addc_co_u32_e32 v49, vcc, 0, v49, vcc
	s_waitcnt vmcnt(0)
	flat_store_dwordx2 v[9:10], v[48:49]
.LBB4_110:                              ;   in Loop: Header=BB4_71 Depth=2
	s_or_b64 exec, exec, s[20:21]
	v_and_b32_e32 v9, 0x7ffffff8, v28
	v_mov_b32_e32 v10, v3
	v_cmp_eq_u64_e32 vcc, s[46:47], v[9:10]
	v_cmp_gt_i32_e64 s[20:21], s94, v2
	s_and_b64 s[20:21], vcc, s[20:21]
	s_and_saveexec_b64 s[56:57], s[20:21]
	s_cbranch_execz .LBB4_70
; %bb.111:                              ;   in Loop: Header=BB4_71 Depth=2
	v_and_b32_e32 v0, 7, v8
	v_mul_lo_u32 v9, s94, v0
	v_ashrrev_i32_e32 v20, 31, v2
	v_mov_b32_e32 v19, v2
	v_lshlrev_b64 v[19:20], 4, v[19:20]
	v_ashrrev_i32_e32 v10, 31, v9
	v_lshlrev_b64 v[9:10], 4, v[9:10]
	s_waitcnt vmcnt(0) lgkmcnt(0)
	v_mov_b32_e32 v17, v3
	v_add_co_u32_e32 v0, vcc, v19, v9
	v_addc_co_u32_e32 v10, vcc, v20, v10, vcc
	v_add_co_u32_e32 v9, vcc, v38, v0
	v_addc_co_u32_e32 v10, vcc, v39, v10, vcc
	s_mov_b64 s[58:59], 0
.LBB4_112:                              ;   Parent Loop BB4_24 Depth=1
                                        ;     Parent Loop BB4_71 Depth=2
                                        ; =>    This Inner Loop Header: Depth=3
	v_mov_b32_e32 v19, v17
	v_mov_b32_e32 v20, v18
	v_add_u32_e32 v2, v2, v1
	global_store_dwordx4 v[9:10], v[17:20], off
	v_add_co_u32_e32 v9, vcc, v9, v5
	v_cmp_le_i32_e64 s[20:21], s94, v2
	s_or_b64 s[58:59], s[20:21], s[58:59]
	v_addc_co_u32_e32 v10, vcc, v10, v6, vcc
	s_andn2_b64 exec, exec, s[58:59]
	s_cbranch_execnz .LBB4_112
	s_branch .LBB4_70
.LBB4_113:                              ;   in Loop: Header=BB4_71 Depth=2
	buffer_load_dword v30, off, s[0:3], s32 offset:72 ; 4-byte Folded Reload
	buffer_load_dword v31, off, s[0:3], s32 offset:76 ; 4-byte Folded Reload
	s_waitcnt vmcnt(0) lgkmcnt(0)
	v_ashrrev_i32_e32 v0, 31, v17
	v_mul_lo_u32 v2, v43, v17
	v_mad_u64_u32 v[9:10], s[20:21], v42, v17, 0
	v_mul_lo_u32 v0, v42, v0
	v_add_u32_e32 v40, 1, v36
	s_mov_b64 s[58:59], 0
	v_mov_b32_e32 v26, v34
	v_add3_u32 v10, v10, v0, v2
	v_and_b32_e32 v0, 7, v36
	v_mul_lo_u32 v19, v0, s94
	v_and_b32_e32 v0, 7, v28
	v_lshlrev_b64 v[9:10], 2, v[9:10]
	v_mul_lo_u32 v21, v0, s94
	v_ashrrev_i32_e32 v20, 31, v19
	v_add_co_u32_e32 v9, vcc, v41, v9
	v_lshlrev_b64 v[19:20], 4, v[19:20]
	v_addc_co_u32_e32 v10, vcc, v7, v10, vcc
	v_ashrrev_i32_e32 v22, 31, v21
	v_mov_b32_e32 v2, v4
                                        ; implicit-def: $vgpr44_vgpr45
	v_add_co_u32_e32 v17, vcc, v30, v19
	v_addc_co_u32_e32 v0, vcc, v31, v20, vcc
	v_lshlrev_b64 v[19:20], 4, v[21:22]
	v_add_co_u32_e32 v50, vcc, v38, v19
	v_addc_co_u32_e32 v51, vcc, v39, v20, vcc
	s_branch .LBB4_117
.LBB4_114:                              ;   in Loop: Header=BB4_117 Depth=3
	s_or_b64 exec, exec, s[20:21]
.LBB4_115:                              ;   in Loop: Header=BB4_117 Depth=3
	s_or_b64 exec, exec, s[62:63]
.LBB4_116:                              ;   in Loop: Header=BB4_117 Depth=3
	s_or_b64 exec, exec, s[60:61]
	v_lshlrev_b64 v[30:31], 2, v[56:57]
	s_waitcnt vmcnt(0)
	v_mad_u64_u32 v[19:20], s[20:21], v35, v27, v[19:20]
	v_add_co_u32_e32 v9, vcc, v9, v30
	v_addc_co_u32_e32 v10, vcc, v10, v31, vcc
	v_mad_u64_u32 v[21:22], s[20:21], v45, v27, v[21:22]
	v_add_co_u32_e32 v30, vcc, v50, v46
	v_addc_co_u32_e32 v31, vcc, v51, v47, vcc
	v_sub_u32_e32 v26, v26, v56
	v_cmp_gt_i32_e32 vcc, 1, v26
	v_mov_b32_e32 v20, v18
	v_mov_b32_e32 v22, v18
	s_or_b64 s[58:59], vcc, s[58:59]
	v_add_u32_e32 v2, v2, v1
	global_store_dwordx4 v[30:31], v[19:22], off
	s_andn2_b64 exec, exec, s[58:59]
	s_cbranch_execz .LBB4_129
.LBB4_117:                              ;   Parent Loop BB4_24 Depth=1
                                        ;     Parent Loop BB4_71 Depth=2
                                        ; =>    This Loop Header: Depth=3
                                        ;         Child Loop BB4_123 Depth 4
	global_load_dword v35, v[9:10], off glc slc
	v_cmp_ne_u32_e32 vcc, 1, v26
	s_and_saveexec_b64 s[20:21], vcc
	s_cbranch_execz .LBB4_119
; %bb.118:                              ;   in Loop: Header=BB4_117 Depth=3
	global_load_dword v45, v[9:10], off offset:4 glc slc
.LBB4_119:                              ;   in Loop: Header=BB4_117 Depth=3
	s_or_b64 exec, exec, s[20:21]
	v_lshlrev_b64 v[46:47], 4, v[2:3]
	v_add_co_u32_e32 v58, vcc, v17, v46
	v_addc_co_u32_e32 v59, vcc, v0, v47, vcc
	global_load_dwordx4 v[19:22], v[58:59], off glc slc
	v_cmp_eq_u32_e32 vcc, 0, v25
	v_mov_b32_e32 v25, 1
	s_and_saveexec_b64 s[60:61], vcc
	s_cbranch_execz .LBB4_116
; %bb.120:                              ;   in Loop: Header=BB4_117 Depth=3
	s_waitcnt vmcnt(0)
	v_cmp_ne_u32_e32 vcc, v40, v20
	v_cmp_ne_u32_e64 s[20:21], v40, v22
	s_or_b64 s[20:21], vcc, s[20:21]
	v_mov_b32_e32 v25, 0
	s_and_saveexec_b64 s[62:63], s[20:21]
	s_cbranch_execz .LBB4_115
; %bb.121:                              ;   in Loop: Header=BB4_117 Depth=3
	s_mov_b32 s28, 1
	s_mov_b64 s[74:75], 0
                                        ; implicit-def: $sgpr72_sgpr73
                                        ; implicit-def: $sgpr76_sgpr77
	s_branch .LBB4_123
.LBB4_122:                              ;   in Loop: Header=BB4_123 Depth=4
	s_or_b64 exec, exec, s[88:89]
	s_and_b64 s[20:21], exec, s[20:21]
	s_or_b64 s[74:75], s[20:21], s[74:75]
	s_andn2_b64 s[20:21], s[72:73], exec
	s_and_b64 s[72:73], s[76:77], exec
	s_or_b64 s[72:73], s[20:21], s[72:73]
	s_andn2_b64 exec, exec, s[74:75]
	s_cbranch_execz .LBB4_127
.LBB4_123:                              ;   Parent Loop BB4_24 Depth=1
                                        ;     Parent Loop BB4_71 Depth=2
                                        ;       Parent Loop BB4_117 Depth=3
                                        ; =>      This Inner Loop Header: Depth=4
	global_load_dwordx4 v[19:22], v[58:59], off glc slc
	s_add_i32 s28, s28, 1
	s_mov_b64 s[20:21], -1
	s_cmpk_lg_i32 s28, 0x2710
	s_mov_b64 s[78:79], -1
                                        ; implicit-def: $vgpr44
	s_cbranch_scc0 .LBB4_125
; %bb.124:                              ;   in Loop: Header=BB4_123 Depth=4
	s_or_b64 s[76:77], s[76:77], exec
	s_and_saveexec_b64 s[88:89], s[78:79]
	s_cbranch_execz .LBB4_122
	s_branch .LBB4_126
.LBB4_125:                              ;   in Loop: Header=BB4_123 Depth=4
	s_trap 2
	ds_read_b64 v[30:31], v0
	s_mov_b32 s28, 0
	s_waitcnt vmcnt(0) lgkmcnt(0)
	flat_load_dword v44, v[30:31] glc
	s_waitcnt vmcnt(0) lgkmcnt(0)
	buffer_wbinvl1_vol
	v_cmp_eq_u32_e32 vcc, 0, v44
	s_orn2_b64 s[78:79], vcc, exec
	s_or_b64 s[76:77], s[76:77], exec
	s_and_saveexec_b64 s[88:89], s[78:79]
	s_cbranch_execz .LBB4_122
.LBB4_126:                              ;   in Loop: Header=BB4_123 Depth=4
	s_waitcnt vmcnt(0)
	v_cmp_eq_u32_e32 vcc, v40, v20
	v_cmp_eq_u32_e64 s[20:21], v40, v22
	s_and_b64 s[20:21], vcc, s[20:21]
	s_andn2_b64 s[76:77], s[76:77], exec
	s_orn2_b64 s[20:21], s[20:21], exec
	s_branch .LBB4_122
.LBB4_127:                              ;   in Loop: Header=BB4_117 Depth=3
	s_or_b64 exec, exec, s[74:75]
	v_mov_b32_e32 v25, 0
	s_and_saveexec_b64 s[20:21], s[72:73]
	s_xor_b64 s[20:21], exec, s[20:21]
	s_cbranch_execz .LBB4_114
; %bb.128:                              ;   in Loop: Header=BB4_117 Depth=3
	v_mov_b32_e32 v25, 1
	ds_write_b32 v0, v44
	s_trap 2
	s_branch .LBB4_114
.LBB4_129:                              ;   in Loop: Header=BB4_71 Depth=2
	s_or_b64 exec, exec, s[58:59]
	s_or_b64 exec, exec, s[56:57]
	s_and_saveexec_b64 s[20:21], s[10:11]
	s_cbranch_execz .LBB4_108
.LBB4_130:                              ;   in Loop: Header=BB4_71 Depth=2
	s_and_saveexec_b64 s[56:57], s[42:43]
	s_xor_b64 s[56:57], exec, s[56:57]
	s_cbranch_execz .LBB4_145
; %bb.131:                              ;   in Loop: Header=BB4_71 Depth=2
	s_and_saveexec_b64 s[58:59], s[12:13]
	s_cbranch_execz .LBB4_144
; %bb.132:                              ;   in Loop: Header=BB4_71 Depth=2
	s_mov_b64 s[62:63], exec
	v_mbcnt_lo_u32_b32 v0, s62, 0
	v_mbcnt_hi_u32_b32 v0, s63, v0
	v_cmp_eq_u32_e32 vcc, 0, v0
	s_waitcnt vmcnt(0) lgkmcnt(0)
	buffer_wbinvl1_vol
	s_and_saveexec_b64 s[60:61], vcc
	s_cbranch_execz .LBB4_134
; %bb.133:                              ;   in Loop: Header=BB4_71 Depth=2
	s_bcnt1_i32_b64 s28, s[62:63]
	v_mov_b32_e32 v9, s28
	v_mov_b32_e32 v10, v3
	ds_add_u64 v0, v[9:10]
	s_trap 2
.LBB4_134:                              ;   in Loop: Header=BB4_71 Depth=2
	s_or_b64 exec, exec, s[60:61]
	s_trap 2
	ds_read_b64 v[9:10], v0
	s_waitcnt lgkmcnt(0)
	buffer_load_dword v0, off, s[0:3], s32 offset:84 ; 4-byte Folded Reload
	s_waitcnt vmcnt(0)
	v_add_co_u32_e32 v60, vcc, v60, v0
	v_addc_co_u32_e32 v61, vcc, 0, v61, vcc
	v_cmp_lt_u64_e32 vcc, v[9:10], v[60:61]
	s_and_saveexec_b64 s[60:61], vcc
	s_cbranch_execz .LBB4_143
; %bb.135:                              ;   in Loop: Header=BB4_71 Depth=2
	s_mov_b32 s28, 0
	s_mov_b64 s[62:63], 0
                                        ; implicit-def: $sgpr72_sgpr73
                                        ; implicit-def: $sgpr74_sgpr75
	s_branch .LBB4_137
.LBB4_136:                              ;   in Loop: Header=BB4_137 Depth=3
	s_or_b64 exec, exec, s[78:79]
	s_and_b64 s[76:77], exec, s[88:89]
	s_or_b64 s[62:63], s[76:77], s[62:63]
	s_andn2_b64 s[72:73], s[72:73], exec
	s_and_b64 s[76:77], s[74:75], exec
	s_or_b64 s[72:73], s[72:73], s[76:77]
	s_andn2_b64 exec, exec, s[62:63]
	s_cbranch_execz .LBB4_141
.LBB4_137:                              ;   Parent Loop BB4_24 Depth=1
                                        ;     Parent Loop BB4_71 Depth=2
                                        ; =>    This Inner Loop Header: Depth=3
	s_add_i32 s28, s28, 1
	s_cmpk_lg_i32 s28, 0x2710
	s_cselect_b64 s[76:77], -1, 0
	s_and_b64 vcc, exec, s[76:77]
	s_cbranch_vccz .LBB4_139
; %bb.138:                              ;   in Loop: Header=BB4_137 Depth=3
	s_mov_b64 s[88:89], -1
	s_or_b64 s[74:75], s[74:75], exec
	s_and_saveexec_b64 s[78:79], s[76:77]
	s_cbranch_execz .LBB4_136
	s_branch .LBB4_140
.LBB4_139:                              ;   in Loop: Header=BB4_137 Depth=3
	s_trap 2
	ds_read_b64 v[9:10], v0
	s_andn2_b64 s[76:77], s[76:77], exec
	s_mov_b32 s28, 0
	s_waitcnt lgkmcnt(0)
	flat_load_dword v0, v[9:10] glc
	s_waitcnt vmcnt(0) lgkmcnt(0)
	buffer_wbinvl1_vol
	v_cmp_eq_u32_e32 vcc, 0, v0
	s_and_b64 s[78:79], vcc, exec
	s_or_b64 s[76:77], s[76:77], s[78:79]
	s_mov_b64 s[88:89], -1
	s_or_b64 s[74:75], s[74:75], exec
	s_and_saveexec_b64 s[78:79], s[76:77]
	s_cbranch_execz .LBB4_136
.LBB4_140:                              ;   in Loop: Header=BB4_137 Depth=3
	s_sleep 1
	s_trap 2
	ds_read_b64 v[9:10], v0
	s_waitcnt lgkmcnt(0)
	s_andn2_b64 s[74:75], s[74:75], exec
	v_cmp_ge_u64_e32 vcc, v[9:10], v[60:61]
	s_orn2_b64 s[88:89], vcc, exec
	s_branch .LBB4_136
.LBB4_141:                              ;   in Loop: Header=BB4_71 Depth=2
	s_or_b64 exec, exec, s[62:63]
	s_and_saveexec_b64 s[62:63], s[72:73]
	s_xor_b64 s[62:63], exec, s[62:63]
	s_cbranch_execz .LBB4_143
; %bb.142:                              ;   in Loop: Header=BB4_71 Depth=2
	v_mov_b32_e32 v0, 1
	ds_write_b32 v0, v0
	s_trap 2
.LBB4_143:                              ;   in Loop: Header=BB4_71 Depth=2
	s_or_b64 exec, exec, s[60:61]
	;;#ASMSTART
	s_wakeup
	;;#ASMEND
.LBB4_144:                              ;   in Loop: Header=BB4_71 Depth=2
	s_or_b64 exec, exec, s[58:59]
.LBB4_145:                              ;   in Loop: Header=BB4_71 Depth=2
	s_andn2_saveexec_b64 s[56:57], s[56:57]
	s_cbranch_execz .LBB4_147
; %bb.146:                              ;   in Loop: Header=BB4_71 Depth=2
	s_waitcnt vmcnt(0) lgkmcnt(0)
	buffer_wbinvl1_vol
	s_barrier
.LBB4_147:                              ;   in Loop: Header=BB4_71 Depth=2
	s_or_b64 exec, exec, s[56:57]
	s_or_b64 exec, exec, s[20:21]
	s_and_saveexec_b64 s[20:21], s[14:15]
	s_cbranch_execnz .LBB4_109
	s_branch .LBB4_110
.LBB4_148:                              ;   in Loop: Header=BB4_24 Depth=1
	v_mov_b32_e32 v21, v28
	v_mov_b32_e32 v22, v29
	s_and_saveexec_b64 s[56:57], s[18:19]
	s_cbranch_execnz .LBB4_150
	s_branch .LBB4_173
.LBB4_149:                              ;   in Loop: Header=BB4_24 Depth=1
	buffer_load_dword v50, off, s[0:3], s32 offset:112 ; 4-byte Folded Reload
	buffer_load_dword v51, off, s[0:3], s32 offset:116 ; 4-byte Folded Reload
	;; [unrolled: 1-line block ×5, first 2 shown]
	v_mov_b32_e32 v21, v28
	v_mov_b32_e32 v22, v29
	s_and_saveexec_b64 s[56:57], s[18:19]
	s_cbranch_execz .LBB4_173
.LBB4_150:                              ;   in Loop: Header=BB4_24 Depth=1
	flat_load_dword v0, v[23:24]
	s_waitcnt lgkmcnt(0)
	buffer_load_dword v17, off, s[0:3], s32 offset:144 ; 4-byte Folded Reload
	buffer_load_dword v18, off, s[0:3], s32 offset:148 ; 4-byte Folded Reload
	;; [unrolled: 1-line block ×4, first 2 shown]
	s_waitcnt vmcnt(0)
	v_mov_b32_e32 v31, v8
	v_mov_b32_e32 v30, v7
	v_add_u32_e32 v40, 1, v36
	s_mov_b64 s[58:59], 0
	v_ashrrev_i32_e32 v2, 31, v0
	v_mul_lo_u32 v9, v43, v0
	v_mul_lo_u32 v2, v42, v2
	v_mad_u64_u32 v[7:8], s[18:19], v42, v0, 0
	v_add3_u32 v8, v8, v2, v9
	v_mov_b32_e32 v9, v19
	v_mov_b32_e32 v10, v20
	v_add_co_u32_e32 v0, vcc, v9, v30
	v_lshlrev_b64 v[7:8], 2, v[7:8]
	v_addc_co_u32_e32 v2, vcc, v10, v31, vcc
	v_add_co_u32_e32 v0, vcc, v0, v7
	v_addc_co_u32_e32 v2, vcc, v2, v8, vcc
	buffer_load_dword v7, off, s[0:3], s32 offset:160 ; 4-byte Folded Reload
	buffer_load_dword v8, off, s[0:3], s32 offset:164 ; 4-byte Folded Reload
	s_waitcnt vmcnt(1)
	v_add_co_u32_e32 v28, vcc, v0, v7
	buffer_load_dword v0, off, s[0:3], s32 offset:176 ; 4-byte Folded Reload
	s_waitcnt vmcnt(1)
	v_addc_co_u32_e32 v29, vcc, v2, v8, vcc
	v_mov_b32_e32 v2, v4
	s_waitcnt vmcnt(0)
	v_add_co_u32_e32 v30, vcc, v0, v30
	buffer_load_dword v0, off, s[0:3], s32 offset:180 ; 4-byte Folded Reload
	buffer_load_dword v9, off, s[0:3], s32 offset:72 ; 4-byte Folded Reload
	;; [unrolled: 1-line block ×3, first 2 shown]
	s_waitcnt vmcnt(2)
	v_addc_co_u32_e32 v31, vcc, v0, v31, vcc
	v_and_b32_e32 v0, 7, v36
	v_mul_lo_u32 v7, v0, s94
	v_ashrrev_i32_e32 v8, 31, v7
	v_lshlrev_b64 v[7:8], 4, v[7:8]
	s_waitcnt vmcnt(1)
	v_add_co_u32_e32 v7, vcc, v9, v7
	s_waitcnt vmcnt(0)
	v_addc_co_u32_e32 v8, vcc, v10, v8, vcc
                                        ; implicit-def: $vgpr9_vgpr10
	s_branch .LBB4_152
.LBB4_151:                              ;   in Loop: Header=BB4_152 Depth=2
	v_lshlrev_b64 v[17:18], 2, v[56:57]
	v_sub_u32_e32 v34, v34, v56
	v_add_co_u32_e32 v28, vcc, v28, v17
	v_addc_co_u32_e32 v29, vcc, v29, v18, vcc
	v_add_co_u32_e32 v30, vcc, v30, v17
	v_addc_co_u32_e32 v31, vcc, v31, v18, vcc
	v_cmp_gt_i32_e32 vcc, 1, v34
	s_or_b64 s[58:59], vcc, s[58:59]
	v_add_u32_e32 v2, v2, v1
	s_andn2_b64 exec, exec, s[58:59]
	s_cbranch_execz .LBB4_172
.LBB4_152:                              ;   Parent Loop BB4_24 Depth=1
                                        ; =>  This Loop Header: Depth=2
                                        ;       Child Loop BB4_158 Depth 3
	global_load_dword v0, v[28:29], off glc slc
	v_cmp_ne_u32_e32 vcc, 1, v34
	s_and_saveexec_b64 s[18:19], vcc
	s_cbranch_execz .LBB4_154
; %bb.153:                              ;   in Loop: Header=BB4_152 Depth=2
	global_load_dword v10, v[28:29], off offset:4 glc slc
.LBB4_154:                              ;   in Loop: Header=BB4_152 Depth=2
	s_or_b64 exec, exec, s[18:19]
	v_lshlrev_b64 v[17:18], 4, v[2:3]
	v_add_co_u32_e64 v44, s[18:19], v7, v17
	v_addc_co_u32_e64 v45, s[18:19], v8, v18, s[18:19]
	global_load_dwordx4 v[17:20], v[44:45], off glc slc
	v_cmp_eq_u32_e64 s[18:19], 0, v25
	v_mov_b32_e32 v25, 1
	s_and_saveexec_b64 s[60:61], s[18:19]
	s_cbranch_execz .LBB4_166
; %bb.155:                              ;   in Loop: Header=BB4_152 Depth=2
	s_waitcnt vmcnt(0)
	v_cmp_ne_u32_e64 s[18:19], v40, v18
	v_cmp_ne_u32_e64 s[20:21], v40, v20
	s_or_b64 s[18:19], s[18:19], s[20:21]
	v_mov_b32_e32 v25, 0
	s_and_saveexec_b64 s[62:63], s[18:19]
	s_cbranch_execz .LBB4_165
; %bb.156:                              ;   in Loop: Header=BB4_152 Depth=2
	s_mov_b32 s28, 1
	s_mov_b64 s[74:75], 0
                                        ; implicit-def: $sgpr72_sgpr73
                                        ; implicit-def: $sgpr76_sgpr77
	s_branch .LBB4_158
.LBB4_157:                              ;   in Loop: Header=BB4_158 Depth=3
	s_or_b64 exec, exec, s[78:79]
	s_and_b64 s[18:19], exec, s[20:21]
	s_or_b64 s[74:75], s[18:19], s[74:75]
	s_andn2_b64 s[18:19], s[72:73], exec
	s_and_b64 s[20:21], s[76:77], exec
	s_or_b64 s[72:73], s[18:19], s[20:21]
	s_andn2_b64 exec, exec, s[74:75]
	s_cbranch_execz .LBB4_162
.LBB4_158:                              ;   Parent Loop BB4_24 Depth=1
                                        ;     Parent Loop BB4_152 Depth=2
                                        ; =>    This Inner Loop Header: Depth=3
	global_load_dwordx4 v[17:20], v[44:45], off glc slc
	s_add_i32 s28, s28, 1
	s_mov_b64 s[20:21], -1
	s_cmpk_lg_i32 s28, 0x2710
	s_mov_b64 s[18:19], -1
                                        ; implicit-def: $vgpr9
	s_cbranch_scc0 .LBB4_160
; %bb.159:                              ;   in Loop: Header=BB4_158 Depth=3
	s_or_b64 s[76:77], s[76:77], exec
	s_and_saveexec_b64 s[78:79], s[18:19]
	s_cbranch_execz .LBB4_157
	s_branch .LBB4_161
.LBB4_160:                              ;   in Loop: Header=BB4_158 Depth=3
	s_trap 2
	ds_read_b64 v[25:26], v0
	s_mov_b32 s28, 0
	s_waitcnt vmcnt(0) lgkmcnt(0)
	flat_load_dword v9, v[25:26] glc
	s_waitcnt vmcnt(0) lgkmcnt(0)
	buffer_wbinvl1_vol
	v_cmp_eq_u32_e64 s[18:19], 0, v9
	s_orn2_b64 s[18:19], s[18:19], exec
	s_or_b64 s[76:77], s[76:77], exec
	s_and_saveexec_b64 s[78:79], s[18:19]
	s_cbranch_execz .LBB4_157
.LBB4_161:                              ;   in Loop: Header=BB4_158 Depth=3
	s_waitcnt vmcnt(0)
	v_cmp_eq_u32_e64 s[18:19], v40, v18
	v_cmp_eq_u32_e64 s[20:21], v40, v20
	s_and_b64 s[18:19], s[18:19], s[20:21]
	s_andn2_b64 s[76:77], s[76:77], exec
	s_orn2_b64 s[20:21], s[18:19], exec
	s_branch .LBB4_157
.LBB4_162:                              ;   in Loop: Header=BB4_152 Depth=2
	s_or_b64 exec, exec, s[74:75]
	v_mov_b32_e32 v25, 0
	s_and_saveexec_b64 s[18:19], s[72:73]
	s_xor_b64 s[18:19], exec, s[18:19]
	s_cbranch_execz .LBB4_164
; %bb.163:                              ;   in Loop: Header=BB4_152 Depth=2
	v_mov_b32_e32 v25, 1
	ds_write_b32 v0, v9
	s_trap 2
.LBB4_164:                              ;   in Loop: Header=BB4_152 Depth=2
	s_or_b64 exec, exec, s[18:19]
.LBB4_165:                              ;   in Loop: Header=BB4_152 Depth=2
	s_or_b64 exec, exec, s[62:63]
.LBB4_166:                              ;   in Loop: Header=BB4_152 Depth=2
	s_or_b64 exec, exec, s[60:61]
	s_waitcnt vmcnt(0)
	v_mad_u64_u32 v[18:19], s[18:19], v10, v27, v[19:20]
	v_mad_u64_u32 v[19:20], s[18:19], v0, v27, v[17:18]
	v_cmp_ne_u32_e64 s[18:19], 1, v34
	s_and_b64 s[18:19], s[16:17], s[18:19]
	v_cndmask_b32_e64 v0, 0, 1, s[18:19]
	v_cmp_ne_u32_e64 s[18:19], 0, v0
	s_cmp_lg_u64 s[18:19], exec
	s_mov_b64 s[18:19], -1
	s_cbranch_scc0 .LBB4_170
; %bb.167:                              ;   in Loop: Header=BB4_152 Depth=2
	flat_store_dword v[30:31], v19
	s_and_saveexec_b64 s[18:19], vcc
	s_cbranch_execz .LBB4_169
; %bb.168:                              ;   in Loop: Header=BB4_152 Depth=2
	flat_store_dword v[30:31], v18 offset:4
.LBB4_169:                              ;   in Loop: Header=BB4_152 Depth=2
	s_or_b64 exec, exec, s[18:19]
	s_mov_b64 s[18:19], 0
.LBB4_170:                              ;   in Loop: Header=BB4_152 Depth=2
	s_andn2_b64 vcc, exec, s[18:19]
	s_cbranch_vccnz .LBB4_151
; %bb.171:                              ;   in Loop: Header=BB4_152 Depth=2
	v_mov_b32_e32 v20, v18
	global_store_dwordx2 v[30:31], v[19:20], off
	s_branch .LBB4_151
.LBB4_172:                              ;   in Loop: Header=BB4_24 Depth=1
	s_or_b64 exec, exec, s[58:59]
	buffer_load_dword v50, off, s[0:3], s32 offset:112 ; 4-byte Folded Reload
	buffer_load_dword v51, off, s[0:3], s32 offset:116 ; 4-byte Folded Reload
.LBB4_173:                              ;   in Loop: Header=BB4_24 Depth=1
	s_or_b64 exec, exec, s[56:57]
	buffer_load_dword v7, off, s[0:3], s32 offset:88 ; 4-byte Folded Reload
	buffer_load_dword v8, off, s[0:3], s32 offset:92 ; 4-byte Folded Reload
	;; [unrolled: 1-line block ×4, first 2 shown]
	s_and_saveexec_b64 s[18:19], s[10:11]
	s_cbranch_execz .LBB4_192
; %bb.174:                              ;   in Loop: Header=BB4_24 Depth=1
	s_and_saveexec_b64 s[20:21], s[42:43]
	s_xor_b64 s[20:21], exec, s[20:21]
	s_cbranch_execz .LBB4_189
; %bb.175:                              ;   in Loop: Header=BB4_24 Depth=1
	s_and_saveexec_b64 s[56:57], s[12:13]
	s_cbranch_execz .LBB4_188
; %bb.176:                              ;   in Loop: Header=BB4_24 Depth=1
	s_mov_b64 s[60:61], exec
	v_mbcnt_lo_u32_b32 v0, s60, 0
	v_mbcnt_hi_u32_b32 v0, s61, v0
	v_cmp_eq_u32_e32 vcc, 0, v0
	s_waitcnt vmcnt(0) lgkmcnt(0)
	buffer_wbinvl1_vol
	s_and_saveexec_b64 s[58:59], vcc
	s_cbranch_execz .LBB4_178
; %bb.177:                              ;   in Loop: Header=BB4_24 Depth=1
	s_bcnt1_i32_b64 s28, s[60:61]
	v_mov_b32_e32 v2, s28
	ds_add_u64 v0, v[2:3]
	s_trap 2
.LBB4_178:                              ;   in Loop: Header=BB4_24 Depth=1
	s_or_b64 exec, exec, s[58:59]
	s_trap 2
	ds_read_b64 v[7:8], v0
	s_waitcnt lgkmcnt(0)
	buffer_load_dword v0, off, s[0:3], s32 offset:84 ; 4-byte Folded Reload
	s_waitcnt vmcnt(0)
	v_add_co_u32_e32 v60, vcc, v60, v0
	v_addc_co_u32_e32 v61, vcc, 0, v61, vcc
	v_cmp_lt_u64_e32 vcc, v[7:8], v[60:61]
	s_and_saveexec_b64 s[58:59], vcc
	s_cbranch_execz .LBB4_187
; %bb.179:                              ;   in Loop: Header=BB4_24 Depth=1
	s_mov_b32 s28, 0
	s_mov_b64 s[60:61], 0
                                        ; implicit-def: $sgpr62_sgpr63
                                        ; implicit-def: $sgpr72_sgpr73
	s_branch .LBB4_181
.LBB4_180:                              ;   in Loop: Header=BB4_181 Depth=2
	s_or_b64 exec, exec, s[76:77]
	s_and_b64 s[74:75], exec, s[78:79]
	s_or_b64 s[60:61], s[74:75], s[60:61]
	s_andn2_b64 s[62:63], s[62:63], exec
	s_and_b64 s[74:75], s[72:73], exec
	s_or_b64 s[62:63], s[62:63], s[74:75]
	s_andn2_b64 exec, exec, s[60:61]
	s_cbranch_execz .LBB4_185
.LBB4_181:                              ;   Parent Loop BB4_24 Depth=1
                                        ; =>  This Inner Loop Header: Depth=2
	s_add_i32 s28, s28, 1
	s_cmpk_lg_i32 s28, 0x2710
	s_cselect_b64 s[74:75], -1, 0
	s_and_b64 vcc, exec, s[74:75]
	s_cbranch_vccz .LBB4_183
; %bb.182:                              ;   in Loop: Header=BB4_181 Depth=2
	s_mov_b64 s[78:79], -1
	s_or_b64 s[72:73], s[72:73], exec
	s_and_saveexec_b64 s[76:77], s[74:75]
	s_cbranch_execz .LBB4_180
	s_branch .LBB4_184
.LBB4_183:                              ;   in Loop: Header=BB4_181 Depth=2
	s_trap 2
	ds_read_b64 v[7:8], v0
	s_andn2_b64 s[74:75], s[74:75], exec
	s_mov_b32 s28, 0
	s_waitcnt lgkmcnt(0)
	flat_load_dword v0, v[7:8] glc
	s_waitcnt vmcnt(0) lgkmcnt(0)
	buffer_wbinvl1_vol
	v_cmp_eq_u32_e32 vcc, 0, v0
	s_and_b64 s[76:77], vcc, exec
	s_or_b64 s[74:75], s[74:75], s[76:77]
	s_mov_b64 s[78:79], -1
	s_or_b64 s[72:73], s[72:73], exec
	s_and_saveexec_b64 s[76:77], s[74:75]
	s_cbranch_execz .LBB4_180
.LBB4_184:                              ;   in Loop: Header=BB4_181 Depth=2
	s_sleep 1
	s_trap 2
	ds_read_b64 v[7:8], v0
	s_waitcnt lgkmcnt(0)
	s_andn2_b64 s[72:73], s[72:73], exec
	v_cmp_ge_u64_e32 vcc, v[7:8], v[60:61]
	s_orn2_b64 s[78:79], vcc, exec
	s_branch .LBB4_180
.LBB4_185:                              ;   in Loop: Header=BB4_24 Depth=1
	s_or_b64 exec, exec, s[60:61]
	s_and_saveexec_b64 s[60:61], s[62:63]
	s_xor_b64 s[60:61], exec, s[60:61]
	s_cbranch_execz .LBB4_187
; %bb.186:                              ;   in Loop: Header=BB4_24 Depth=1
	v_mov_b32_e32 v0, 1
	ds_write_b32 v0, v0
	s_trap 2
.LBB4_187:                              ;   in Loop: Header=BB4_24 Depth=1
	s_or_b64 exec, exec, s[58:59]
	;;#ASMSTART
	s_wakeup
	;;#ASMEND
.LBB4_188:                              ;   in Loop: Header=BB4_24 Depth=1
	s_or_b64 exec, exec, s[56:57]
.LBB4_189:                              ;   in Loop: Header=BB4_24 Depth=1
	s_andn2_saveexec_b64 s[20:21], s[20:21]
	s_cbranch_execz .LBB4_191
; %bb.190:                              ;   in Loop: Header=BB4_24 Depth=1
	s_waitcnt vmcnt(0) lgkmcnt(0)
	buffer_wbinvl1_vol
	s_barrier
.LBB4_191:                              ;   in Loop: Header=BB4_24 Depth=1
	s_or_b64 exec, exec, s[20:21]
.LBB4_192:                              ;   in Loop: Header=BB4_24 Depth=1
	s_or_b64 exec, exec, s[18:19]
	s_and_saveexec_b64 s[18:19], s[14:15]
	s_cbranch_execz .LBB4_23
; %bb.193:                              ;   in Loop: Header=BB4_24 Depth=1
	buffer_load_dword v7, off, s[0:3], s32 offset:64 ; 4-byte Folded Reload
	buffer_load_dword v8, off, s[0:3], s32 offset:68 ; 4-byte Folded Reload
	v_add_co_u32_e32 v48, vcc, 1, v48
	v_addc_co_u32_e32 v49, vcc, 0, v49, vcc
	s_waitcnt vmcnt(0)
	flat_store_dwordx2 v[7:8], v[48:49]
	s_branch .LBB4_23
.LBB4_194:
	s_or_b64 exec, exec, s[40:41]
	buffer_load_dword v31, off, s[0:3], s32 offset:196 ; 4-byte Folded Reload
	buffer_load_dword v11, off, s[0:3], s32 offset:200 ; 4-byte Folded Reload
	;; [unrolled: 1-line block ×6, first 2 shown]
	s_or_b64 exec, exec, s[26:27]
	s_and_saveexec_b64 s[6:7], s[24:25]
	s_cbranch_execz .LBB4_20
.LBB4_195:
	s_waitcnt vmcnt(0) lgkmcnt(0)
	flat_store_dwordx2 v[25:26], v[48:49] offset:104
	s_or_b64 exec, exec, s[6:7]
	s_and_saveexec_b64 s[6:7], s[4:5]
	s_cbranch_execz .LBB4_21
.LBB4_196:
	s_waitcnt vmcnt(0) lgkmcnt(0)
	flat_store_dwordx2 v[9:10], v[15:16] offset:104
	s_or_b64 exec, exec, s[6:7]
	v_cmp_ne_u32_e32 vcc, 64, v1
	s_and_saveexec_b64 s[4:5], vcc
	s_cbranch_execz .LBB4_214
.LBB4_197:
	s_waitcnt vmcnt(0)
	v_cmp_ne_u32_sdwa s[6:7], v1, v11 src0_sel:DWORD src1_sel:WORD_0
	s_and_saveexec_b64 s[8:9], s[6:7]
	s_xor_b64 s[6:7], exec, s[8:9]
	s_cbranch_execz .LBB4_212
; %bb.198:
	v_and_b32_e32 v0, 63, v31
	v_cmp_eq_u32_e32 vcc, 0, v0
	s_and_saveexec_b64 s[8:9], vcc
	s_cbranch_execz .LBB4_211
; %bb.199:
	s_mov_b64 s[12:13], exec
	v_mbcnt_lo_u32_b32 v0, s12, 0
	v_mbcnt_hi_u32_b32 v0, s13, v0
	v_cmp_eq_u32_e32 vcc, 0, v0
	s_waitcnt lgkmcnt(0)
	buffer_wbinvl1_vol
	s_and_saveexec_b64 s[10:11], vcc
	s_cbranch_execz .LBB4_201
; %bb.200:
	s_bcnt1_i32_b64 s12, s[12:13]
	v_mov_b32_e32 v2, s12
	v_mov_b32_e32 v3, 0
	ds_add_u64 v0, v[2:3]
	s_trap 2
.LBB4_201:
	s_or_b64 exec, exec, s[10:11]
	v_lshrrev_b32_e32 v0, 6, v1
	s_trap 2
	ds_read_b64 v[2:3], v0
	s_waitcnt lgkmcnt(0)
	v_add_co_u32_e32 v0, vcc, v60, v0
	v_addc_co_u32_e32 v1, vcc, 0, v61, vcc
	v_cmp_lt_u64_e32 vcc, v[2:3], v[0:1]
	s_and_saveexec_b64 s[10:11], vcc
	s_cbranch_execz .LBB4_210
; %bb.202:
	s_mov_b32 s24, 0
	s_mov_b64 s[12:13], 0
                                        ; implicit-def: $sgpr14_sgpr15
                                        ; implicit-def: $sgpr16_sgpr17
	s_branch .LBB4_204
.LBB4_203:                              ;   in Loop: Header=BB4_204 Depth=1
	s_or_b64 exec, exec, s[20:21]
	s_and_b64 s[18:19], exec, s[22:23]
	s_or_b64 s[12:13], s[18:19], s[12:13]
	s_andn2_b64 s[14:15], s[14:15], exec
	s_and_b64 s[18:19], s[16:17], exec
	s_or_b64 s[14:15], s[14:15], s[18:19]
	s_andn2_b64 exec, exec, s[12:13]
	s_cbranch_execz .LBB4_208
.LBB4_204:                              ; =>This Inner Loop Header: Depth=1
	s_add_i32 s24, s24, 1
	s_cmpk_lg_i32 s24, 0x2710
	s_cselect_b64 s[18:19], -1, 0
	s_and_b64 vcc, exec, s[18:19]
	s_cbranch_vccz .LBB4_206
; %bb.205:                              ;   in Loop: Header=BB4_204 Depth=1
	s_mov_b64 s[22:23], -1
	s_or_b64 s[16:17], s[16:17], exec
	s_and_saveexec_b64 s[20:21], s[18:19]
	s_cbranch_execz .LBB4_203
	s_branch .LBB4_207
.LBB4_206:                              ;   in Loop: Header=BB4_204 Depth=1
	s_trap 2
	ds_read_b64 v[2:3], v0
	s_andn2_b64 s[18:19], s[18:19], exec
	s_mov_b32 s24, 0
	s_waitcnt lgkmcnt(0)
	flat_load_dword v2, v[2:3] glc
	s_waitcnt vmcnt(0) lgkmcnt(0)
	buffer_wbinvl1_vol
	v_cmp_eq_u32_e32 vcc, 0, v2
	s_and_b64 s[20:21], vcc, exec
	s_or_b64 s[18:19], s[18:19], s[20:21]
	s_mov_b64 s[22:23], -1
	s_or_b64 s[16:17], s[16:17], exec
	s_and_saveexec_b64 s[20:21], s[18:19]
	s_cbranch_execz .LBB4_203
.LBB4_207:                              ;   in Loop: Header=BB4_204 Depth=1
	s_sleep 1
	s_trap 2
	ds_read_b64 v[2:3], v0
	s_waitcnt lgkmcnt(0)
	s_andn2_b64 s[16:17], s[16:17], exec
	v_cmp_ge_u64_e32 vcc, v[2:3], v[0:1]
	s_orn2_b64 s[22:23], vcc, exec
	s_branch .LBB4_203
.LBB4_208:
	s_or_b64 exec, exec, s[12:13]
	s_and_saveexec_b64 s[12:13], s[14:15]
	s_xor_b64 s[12:13], exec, s[12:13]
	s_cbranch_execz .LBB4_210
; %bb.209:
	v_mov_b32_e32 v0, 1
	ds_write_b32 v0, v0
	s_trap 2
.LBB4_210:
	s_or_b64 exec, exec, s[10:11]
	;;#ASMSTART
	s_wakeup
	;;#ASMEND
.LBB4_211:
	s_or_b64 exec, exec, s[8:9]
.LBB4_212:
	s_andn2_saveexec_b64 s[6:7], s[6:7]
	s_cbranch_execz .LBB4_214
; %bb.213:
	s_waitcnt lgkmcnt(0)
	buffer_wbinvl1_vol
	s_barrier
.LBB4_214:
	s_or_b64 exec, exec, s[4:5]
	buffer_load_dword v63, off, s[0:3], s32 ; 4-byte Folded Reload
	buffer_load_dword v62, off, s[0:3], s32 offset:4 ; 4-byte Folded Reload
	buffer_load_dword v61, off, s[0:3], s32 offset:8 ; 4-byte Folded Reload
	;; [unrolled: 1-line block ×15, first 2 shown]
	s_waitcnt vmcnt(0) lgkmcnt(0)
	s_setpc_b64 s[30:31]
.Lfunc_end4:
	.size	_ZN12_GLOBAL__N_17runRingIj13FuncPreMulSumIjE7ProtoLLLi0ELi4ELi0EEEviiP15ncclDevWorkColl, .Lfunc_end4-_ZN12_GLOBAL__N_17runRingIj13FuncPreMulSumIjE7ProtoLLLi0ELi4ELi0EEEviiP15ncclDevWorkColl
                                        ; -- End function
	.set .L_ZN12_GLOBAL__N_17runRingIj13FuncPreMulSumIjE7ProtoLLLi0ELi4ELi0EEEviiP15ncclDevWorkColl.num_vgpr, 64
	.set .L_ZN12_GLOBAL__N_17runRingIj13FuncPreMulSumIjE7ProtoLLLi0ELi4ELi0EEEviiP15ncclDevWorkColl.num_agpr, 0
	.set .L_ZN12_GLOBAL__N_17runRingIj13FuncPreMulSumIjE7ProtoLLLi0ELi4ELi0EEEviiP15ncclDevWorkColl.numbered_sgpr, 96
	.set .L_ZN12_GLOBAL__N_17runRingIj13FuncPreMulSumIjE7ProtoLLLi0ELi4ELi0EEEviiP15ncclDevWorkColl.num_named_barrier, 0
	.set .L_ZN12_GLOBAL__N_17runRingIj13FuncPreMulSumIjE7ProtoLLLi0ELi4ELi0EEEviiP15ncclDevWorkColl.private_seg_size, 224
	.set .L_ZN12_GLOBAL__N_17runRingIj13FuncPreMulSumIjE7ProtoLLLi0ELi4ELi0EEEviiP15ncclDevWorkColl.uses_vcc, 1
	.set .L_ZN12_GLOBAL__N_17runRingIj13FuncPreMulSumIjE7ProtoLLLi0ELi4ELi0EEEviiP15ncclDevWorkColl.uses_flat_scratch, 0
	.set .L_ZN12_GLOBAL__N_17runRingIj13FuncPreMulSumIjE7ProtoLLLi0ELi4ELi0EEEviiP15ncclDevWorkColl.has_dyn_sized_stack, 0
	.set .L_ZN12_GLOBAL__N_17runRingIj13FuncPreMulSumIjE7ProtoLLLi0ELi4ELi0EEEviiP15ncclDevWorkColl.has_recursion, 0
	.set .L_ZN12_GLOBAL__N_17runRingIj13FuncPreMulSumIjE7ProtoLLLi0ELi4ELi0EEEviiP15ncclDevWorkColl.has_indirect_call, 0
	.section	.AMDGPU.csdata,"",@progbits
; Function info:
; codeLenInByte = 7852
; TotalNumSgprs: 100
; NumVgprs: 64
; ScratchSize: 224
; MemoryBound: 0
	.text
	.p2align	2                               ; -- Begin function _Z53ncclDevFunc_ReduceScatter_RING_LL_PreMulSum_u32_0_0_4v
	.type	_Z53ncclDevFunc_ReduceScatter_RING_LL_PreMulSum_u32_0_0_4v,@function
_Z53ncclDevFunc_ReduceScatter_RING_LL_PreMulSum_u32_0_0_4v: ; @_Z53ncclDevFunc_ReduceScatter_RING_LL_PreMulSum_u32_0_0_4v
; %bb.0:
	s_waitcnt vmcnt(0) expcnt(0) lgkmcnt(0)
	s_mov_b32 s4, s33
	s_mov_b32 s33, s32
	s_or_saveexec_b64 s[6:7], -1
	buffer_store_dword v43, off, s[0:3], s33 offset:12 ; 4-byte Folded Spill
	s_mov_b64 exec, s[6:7]
	v_writelane_b32 v43, s4, 8
	s_addk_i32 s32, 0x800
	buffer_store_dword v40, off, s[0:3], s33 offset:8 ; 4-byte Folded Spill
	buffer_store_dword v41, off, s[0:3], s33 offset:4 ; 4-byte Folded Spill
	buffer_store_dword v42, off, s[0:3], s33 ; 4-byte Folded Spill
	v_writelane_b32 v43, s34, 0
	v_writelane_b32 v43, s35, 1
	;; [unrolled: 1-line block ×8, first 2 shown]
	s_trap 2
	ds_read_b32 v2, v0
	v_mov_b32_e32 v40, v31
	v_and_b32_e32 v41, 0x3ff, v40
	s_mov_b32 s36, s12
	s_mov_b64 s[34:35], s[8:9]
	s_waitcnt lgkmcnt(0)
	v_cmp_lt_i32_e32 vcc, v41, v2
	s_and_saveexec_b64 s[4:5], vcc
	s_cbranch_execz .LBB5_5
; %bb.1:
	s_load_dword s6, s[34:35], 0x0
	v_mov_b32_e32 v1, 0
	v_mov_b32_e32 v6, v41
                                        ; implicit-def: $vgpr5
	s_waitcnt lgkmcnt(0)
	s_cmp_lt_u32 s36, s6
	s_cselect_b32 s6, 12, 18
	s_add_u32 s6, s34, s6
	s_addc_u32 s7, s35, 0
	global_load_ushort v3, v1, s[6:7]
	s_trap 2
	ds_read_b32 v0, v0
	s_mov_b64 s[6:7], 0
	s_waitcnt vmcnt(0) lgkmcnt(0)
	v_mul_lo_u32 v4, v0, v3
	s_branch .LBB5_3
.LBB5_2:                                ;   in Loop: Header=BB5_3 Depth=1
	s_or_b64 exec, exec, s[8:9]
	v_add_u32_e32 v6, v6, v3
	v_cmp_ge_i32_e32 vcc, v6, v2
	s_or_b64 s[6:7], vcc, s[6:7]
	v_add_u32_e32 v5, v5, v4
	s_andn2_b64 exec, exec, s[6:7]
	s_cbranch_execz .LBB5_5
.LBB5_3:                                ; =>This Inner Loop Header: Depth=1
	ds_read_b32 v0, v5
	s_waitcnt lgkmcnt(0)
	v_and_b32_e32 v0, 0x1000000, v0
	v_cmp_ne_u32_e32 vcc, 0, v0
	s_and_saveexec_b64 s[8:9], vcc
	s_cbranch_execz .LBB5_2
; %bb.4:                                ;   in Loop: Header=BB5_3 Depth=1
	ds_read_b64 v[7:8], v5 offset:104
	s_waitcnt lgkmcnt(0)
	flat_load_dword v0, v[7:8]
	s_waitcnt vmcnt(0) lgkmcnt(0)
	ds_write_b64 v5, v[0:1] offset:104
	s_branch .LBB5_2
.LBB5_5:
	s_or_b64 exec, exec, s[4:5]
	s_waitcnt vmcnt(0) lgkmcnt(0)
	s_barrier
	s_trap 2
	ds_read_b32 v0, v0
	s_waitcnt lgkmcnt(0)
	v_cmp_gt_i32_e32 vcc, 1, v0
	s_cbranch_vccnz .LBB5_13
; %bb.6:
	s_mov_b32 s37, 0
	v_mov_b32_e32 v42, 6
	s_branch .LBB5_8
.LBB5_7:                                ;   in Loop: Header=BB5_8 Depth=1
	s_or_b64 exec, exec, s[38:39]
	s_trap 2
	ds_read_b32 v0, v0
	s_add_i32 s37, s37, 1
	s_waitcnt lgkmcnt(0)
	v_cmp_lt_i32_e32 vcc, s37, v0
	s_cbranch_vccz .LBB5_13
.LBB5_8:                                ; =>This Inner Loop Header: Depth=1
	s_trap 2
	ds_read_b32 v0, v0
	s_cmp_eq_u32 s37, 0
	s_cbranch_scc1 .LBB5_11
; %bb.9:                                ;   in Loop: Header=BB5_8 Depth=1
	s_trap 2
	s_waitcnt lgkmcnt(0)
	ds_read_b32 v1, v0
	s_waitcnt lgkmcnt(0)
	v_xor_b32_e32 v1, v1, v0
	v_and_b32_e32 v1, 0xff0000, v1
	v_cmp_eq_u32_e32 vcc, 0, v1
	s_cbranch_vccnz .LBB5_11
; %bb.10:                               ;   in Loop: Header=BB5_8 Depth=1
	s_barrier
	ds_read_b32 v0, v0
.LBB5_11:                               ;   in Loop: Header=BB5_8 Depth=1
	s_waitcnt lgkmcnt(0)
	v_lshlrev_b32_sdwa v1, v42, v0 dst_sel:DWORD dst_unused:UNUSED_PAD src0_sel:DWORD src1_sel:BYTE_2
	v_cmp_lt_u32_e32 vcc, v41, v1
	s_and_saveexec_b64 s[38:39], vcc
	s_cbranch_execz .LBB5_7
; %bb.12:                               ;   in Loop: Header=BB5_8 Depth=1
	s_mov_b64 s[4:5], src_shared_base
	s_getpc_b64 s[6:7]
	s_add_u32 s6, s6, _ZN12_GLOBAL__N_17runRingIj13FuncPreMulSumIjE7ProtoLLLi0ELi4ELi0EEEviiP15ncclDevWorkColl@rel32@lo+4
	s_addc_u32 s7, s7, _ZN12_GLOBAL__N_17runRingIj13FuncPreMulSumIjE7ProtoLLLi0ELi4ELi0EEEviiP15ncclDevWorkColl@rel32@hi+12
	s_mov_b64 s[8:9], s[34:35]
	s_mov_b32 s12, s36
	v_mov_b32_e32 v31, v40
	v_mov_b32_e32 v0, v41
	;; [unrolled: 1-line block ×3, first 2 shown]
	s_swappc_b64 s[30:31], s[6:7]
	s_branch .LBB5_7
.LBB5_13:
	buffer_load_dword v42, off, s[0:3], s33 ; 4-byte Folded Reload
	buffer_load_dword v41, off, s[0:3], s33 offset:4 ; 4-byte Folded Reload
	buffer_load_dword v40, off, s[0:3], s33 offset:8 ; 4-byte Folded Reload
	v_readlane_b32 s30, v43, 6
	v_readlane_b32 s31, v43, 7
	;; [unrolled: 1-line block ×8, first 2 shown]
	s_mov_b32 s32, s33
	v_readlane_b32 s4, v43, 8
	s_or_saveexec_b64 s[6:7], -1
	buffer_load_dword v43, off, s[0:3], s33 offset:12 ; 4-byte Folded Reload
	s_mov_b64 exec, s[6:7]
	s_mov_b32 s33, s4
	s_waitcnt vmcnt(0)
	s_setpc_b64 s[30:31]
.Lfunc_end5:
	.size	_Z53ncclDevFunc_ReduceScatter_RING_LL_PreMulSum_u32_0_0_4v, .Lfunc_end5-_Z53ncclDevFunc_ReduceScatter_RING_LL_PreMulSum_u32_0_0_4v
                                        ; -- End function
	.set .L_Z53ncclDevFunc_ReduceScatter_RING_LL_PreMulSum_u32_0_0_4v.num_vgpr, max(44, .L_ZN12_GLOBAL__N_17runRingIj13FuncPreMulSumIjE7ProtoLLLi0ELi4ELi0EEEviiP15ncclDevWorkColl.num_vgpr)
	.set .L_Z53ncclDevFunc_ReduceScatter_RING_LL_PreMulSum_u32_0_0_4v.num_agpr, max(0, .L_ZN12_GLOBAL__N_17runRingIj13FuncPreMulSumIjE7ProtoLLLi0ELi4ELi0EEEviiP15ncclDevWorkColl.num_agpr)
	.set .L_Z53ncclDevFunc_ReduceScatter_RING_LL_PreMulSum_u32_0_0_4v.numbered_sgpr, max(40, .L_ZN12_GLOBAL__N_17runRingIj13FuncPreMulSumIjE7ProtoLLLi0ELi4ELi0EEEviiP15ncclDevWorkColl.numbered_sgpr)
	.set .L_Z53ncclDevFunc_ReduceScatter_RING_LL_PreMulSum_u32_0_0_4v.num_named_barrier, max(0, .L_ZN12_GLOBAL__N_17runRingIj13FuncPreMulSumIjE7ProtoLLLi0ELi4ELi0EEEviiP15ncclDevWorkColl.num_named_barrier)
	.set .L_Z53ncclDevFunc_ReduceScatter_RING_LL_PreMulSum_u32_0_0_4v.private_seg_size, 32+max(.L_ZN12_GLOBAL__N_17runRingIj13FuncPreMulSumIjE7ProtoLLLi0ELi4ELi0EEEviiP15ncclDevWorkColl.private_seg_size)
	.set .L_Z53ncclDevFunc_ReduceScatter_RING_LL_PreMulSum_u32_0_0_4v.uses_vcc, or(1, .L_ZN12_GLOBAL__N_17runRingIj13FuncPreMulSumIjE7ProtoLLLi0ELi4ELi0EEEviiP15ncclDevWorkColl.uses_vcc)
	.set .L_Z53ncclDevFunc_ReduceScatter_RING_LL_PreMulSum_u32_0_0_4v.uses_flat_scratch, or(0, .L_ZN12_GLOBAL__N_17runRingIj13FuncPreMulSumIjE7ProtoLLLi0ELi4ELi0EEEviiP15ncclDevWorkColl.uses_flat_scratch)
	.set .L_Z53ncclDevFunc_ReduceScatter_RING_LL_PreMulSum_u32_0_0_4v.has_dyn_sized_stack, or(0, .L_ZN12_GLOBAL__N_17runRingIj13FuncPreMulSumIjE7ProtoLLLi0ELi4ELi0EEEviiP15ncclDevWorkColl.has_dyn_sized_stack)
	.set .L_Z53ncclDevFunc_ReduceScatter_RING_LL_PreMulSum_u32_0_0_4v.has_recursion, or(1, .L_ZN12_GLOBAL__N_17runRingIj13FuncPreMulSumIjE7ProtoLLLi0ELi4ELi0EEEviiP15ncclDevWorkColl.has_recursion)
	.set .L_Z53ncclDevFunc_ReduceScatter_RING_LL_PreMulSum_u32_0_0_4v.has_indirect_call, or(0, .L_ZN12_GLOBAL__N_17runRingIj13FuncPreMulSumIjE7ProtoLLLi0ELi4ELi0EEEviiP15ncclDevWorkColl.has_indirect_call)
	.section	.AMDGPU.csdata,"",@progbits
; Function info:
; codeLenInByte = 704
; TotalNumSgprs: 100
; NumVgprs: 64
; ScratchSize: 256
; MemoryBound: 0
	.section	.AMDGPU.gpr_maximums,"",@progbits
	.set amdgpu.max_num_vgpr, 64
	.set amdgpu.max_num_agpr, 0
	.set amdgpu.max_num_sgpr, 96
	.section	.AMDGPU.csdata,"",@progbits
	.type	__hip_cuid_e1b4629fada39c5,@object ; @__hip_cuid_e1b4629fada39c5
	.section	.bss,"aw",@nobits
	.globl	__hip_cuid_e1b4629fada39c5
__hip_cuid_e1b4629fada39c5:
	.byte	0                               ; 0x0
	.size	__hip_cuid_e1b4629fada39c5, 1

	.ident	"AMD clang version 22.0.0git (https://github.com/RadeonOpenCompute/llvm-project roc-7.2.4 26084 f58b06dce1f9c15707c5f808fd002e18c2accf7e)"
	.section	".note.GNU-stack","",@progbits
	.addrsig
	.addrsig_sym _Z53ncclDevFunc_ReduceScatter_RING_LL_PreMulSum_u32_0_0_1v
	.addrsig_sym _Z53ncclDevFunc_ReduceScatter_RING_LL_PreMulSum_u32_0_0_2v
	.addrsig_sym _Z53ncclDevFunc_ReduceScatter_RING_LL_PreMulSum_u32_0_0_4v
	.addrsig_sym ncclShmem
	.addrsig_sym __hip_cuid_e1b4629fada39c5
	.amdgpu_metadata
---
amdhsa.kernels:  []
amdhsa.target:   amdgcn-amd-amdhsa--gfx906
amdhsa.version:
  - 1
  - 2
...

	.end_amdgpu_metadata
